;; amdgpu-corpus repo=ROCm/rocFFT kind=compiled arch=gfx906 opt=O3
	.text
	.amdgcn_target "amdgcn-amd-amdhsa--gfx906"
	.amdhsa_code_object_version 6
	.protected	bluestein_single_fwd_len2560_dim1_sp_op_CI_CI ; -- Begin function bluestein_single_fwd_len2560_dim1_sp_op_CI_CI
	.globl	bluestein_single_fwd_len2560_dim1_sp_op_CI_CI
	.p2align	8
	.type	bluestein_single_fwd_len2560_dim1_sp_op_CI_CI,@function
bluestein_single_fwd_len2560_dim1_sp_op_CI_CI: ; @bluestein_single_fwd_len2560_dim1_sp_op_CI_CI
; %bb.0:
	s_load_dwordx4 s[16:19], s[4:5], 0x28
	s_mov_b32 s7, 0
	s_waitcnt lgkmcnt(0)
	v_mov_b32_e32 v1, s16
	v_mov_b32_e32 v2, s17
	v_cmp_lt_u64_e32 vcc, s[6:7], v[1:2]
	s_and_saveexec_b64 s[0:1], vcc
	s_cbranch_execz .LBB0_2
; %bb.1:
	s_load_dwordx4 s[0:3], s[4:5], 0x18
	s_load_dwordx4 s[8:11], s[4:5], 0x0
	v_mov_b32_e32 v74, s7
	v_mov_b32_e32 v73, s6
	;; [unrolled: 1-line block ×3, first 2 shown]
	s_waitcnt lgkmcnt(0)
	s_load_dwordx4 s[12:15], s[0:1], 0x0
	s_add_u32 s6, s8, 0x5000
	s_addc_u32 s7, s9, 0
	v_lshlrev_b32_e32 v114, 3, v0
	global_load_dwordx2 v[78:79], v114, s[8:9]
	s_waitcnt lgkmcnt(0)
	v_mad_u64_u32 v[1:2], s[0:1], s14, v73, 0
	v_mad_u64_u32 v[3:4], s[0:1], s12, v0, 0
	s_mul_hi_u32 s14, s12, 0x1400
	v_or_b32_e32 v102, 0x1400, v114
	v_mad_u64_u32 v[5:6], s[0:1], s15, v73, v[2:3]
	s_mul_i32 s15, s12, 0x1400
	v_or_b32_e32 v104, 0x2800, v114
	v_mad_u64_u32 v[6:7], s[0:1], s13, v0, v[4:5]
	v_mov_b32_e32 v2, v5
	v_lshlrev_b64 v[1:2], 3, v[1:2]
	v_mov_b32_e32 v4, v6
	v_add_co_u32_e32 v5, vcc, s18, v1
	v_addc_co_u32_e32 v6, vcc, v8, v2, vcc
	v_lshlrev_b64 v[1:2], 3, v[3:4]
	s_mul_i32 s0, s13, 0x1400
	v_add_co_u32_e32 v1, vcc, v5, v1
	v_addc_co_u32_e32 v2, vcc, v6, v2, vcc
	s_add_i32 s14, s14, s0
	global_load_dwordx2 v[3:4], v[1:2], off
	v_mov_b32_e32 v5, s14
	v_add_co_u32_e32 v1, vcc, s15, v1
	v_addc_co_u32_e32 v2, vcc, v2, v5, vcc
	global_load_dwordx2 v[71:72], v102, s[8:9]
	global_load_dwordx2 v[5:6], v[1:2], off
	v_mov_b32_e32 v7, s14
	v_add_co_u32_e32 v1, vcc, s15, v1
	s_mul_hi_u32 s16, s12, 0xffffc800
	v_addc_co_u32_e32 v2, vcc, v2, v7, vcc
	v_or_b32_e32 v103, 0x3c00, v114
	v_or_b32_e32 v105, 0x1800, v114
	;; [unrolled: 1-line block ×4, first 2 shown]
	s_load_dwordx4 s[0:3], s[2:3], 0x0
	global_load_dwordx2 v[84:85], v104, s[8:9]
	global_load_dwordx2 v[80:81], v103, s[8:9]
	;; [unrolled: 1-line block ×5, first 2 shown]
	global_load_dwordx2 v[74:75], v114, s[8:9] offset:1024
	global_load_dwordx2 v[47:48], v114, s[8:9] offset:2048
	;; [unrolled: 1-line block ×3, first 2 shown]
	s_mulk_i32 s13, 0xc800
	s_mul_i32 s17, s12, 0xffffc800
	s_sub_i32 s12, s16, s12
	v_mov_b32_e32 v9, s14
	global_load_dwordx2 v[7:8], v[1:2], off
	v_add_co_u32_e32 v1, vcc, s15, v1
	s_add_i32 s12, s12, s13
	v_addc_co_u32_e32 v2, vcc, v2, v9, vcc
	v_mov_b32_e32 v11, s12
	global_load_dwordx2 v[9:10], v[1:2], off
	v_add_co_u32_e32 v1, vcc, s17, v1
	v_addc_co_u32_e32 v2, vcc, v2, v11, vcc
	v_mov_b32_e32 v13, s14
	global_load_dwordx2 v[11:12], v[1:2], off
	v_add_co_u32_e32 v1, vcc, s15, v1
	v_addc_co_u32_e32 v2, vcc, v2, v13, vcc
	v_mov_b32_e32 v15, s14
	global_load_dwordx2 v[13:14], v[1:2], off
	v_add_co_u32_e32 v1, vcc, s15, v1
	v_addc_co_u32_e32 v2, vcc, v2, v15, vcc
	v_mov_b32_e32 v17, s14
	global_load_dwordx2 v[15:16], v[1:2], off
	v_add_co_u32_e32 v1, vcc, s15, v1
	v_addc_co_u32_e32 v2, vcc, v2, v17, vcc
	global_load_dwordx2 v[17:18], v[1:2], off
	v_add_co_u32_e32 v1, vcc, s17, v1
	v_or_b32_e32 v131, 0x1c00, v114
	global_load_dwordx2 v[82:83], v131, s[8:9]
	v_or_b32_e32 v132, 0x3000, v114
	global_load_dwordx2 v[76:77], v132, s[8:9]
	;; [unrolled: 2-line block ×4, first 2 shown]
	v_or_b32_e32 v90, 0x200, v0
	v_or_b32_e32 v117, 0x2000, v114
	;; [unrolled: 1-line block ×3, first 2 shown]
	v_lshlrev_b32_e32 v127, 3, v90
	global_load_dwordx2 v[65:66], v117, s[8:9]
	global_load_dwordx2 v[61:62], v123, s[8:9]
	;; [unrolled: 1-line block ×3, first 2 shown]
	v_or_b32_e32 v130, 0x2400, v114
	v_or_b32_e32 v133, 0x3800, v114
	global_load_dwordx2 v[53:54], v133, s[8:9]
	global_load_dwordx2 v[55:56], v130, s[8:9]
	v_or_b32_e32 v134, 0x4c00, v114
	global_load_dwordx2 v[49:50], v134, s[8:9]
	v_and_b32_e32 v96, 3, v0
	v_lshlrev_b32_e32 v108, 5, v0
	v_lshlrev_b32_e32 v109, 5, v90
	s_waitcnt vmcnt(26)
	v_mul_f32_e32 v19, v4, v79
	v_mul_f32_e32 v20, v3, v79
	v_fmac_f32_e32 v19, v3, v78
	v_fma_f32 v20, v4, v78, -v20
	s_load_dwordx2 s[4:5], s[4:5], 0x38
	s_waitcnt vmcnt(24)
	v_mul_f32_e32 v3, v6, v72
	v_mul_f32_e32 v4, v5, v72
	v_fmac_f32_e32 v3, v5, v71
	v_mov_b32_e32 v5, s12
	v_addc_co_u32_e32 v2, vcc, v2, v5, vcc
	global_load_dwordx2 v[21:22], v[1:2], off
	v_mov_b32_e32 v5, s14
	v_add_co_u32_e32 v1, vcc, s15, v1
	v_addc_co_u32_e32 v2, vcc, v2, v5, vcc
	global_load_dwordx2 v[23:24], v[1:2], off
	v_add_co_u32_e32 v1, vcc, s15, v1
	v_addc_co_u32_e32 v2, vcc, v2, v5, vcc
	global_load_dwordx2 v[25:26], v[1:2], off
	;; [unrolled: 3-line block ×3, first 2 shown]
	v_mov_b32_e32 v5, s12
	v_add_co_u32_e32 v1, vcc, s17, v1
	v_addc_co_u32_e32 v2, vcc, v2, v5, vcc
	global_load_dwordx2 v[29:30], v[1:2], off
	v_mov_b32_e32 v5, s14
	v_add_co_u32_e32 v1, vcc, s15, v1
	v_addc_co_u32_e32 v2, vcc, v2, v5, vcc
	global_load_dwordx2 v[31:32], v[1:2], off
	v_add_co_u32_e32 v1, vcc, s15, v1
	v_addc_co_u32_e32 v2, vcc, v2, v5, vcc
	global_load_dwordx2 v[33:34], v[1:2], off
	v_add_co_u32_e32 v1, vcc, s15, v1
	v_addc_co_u32_e32 v2, vcc, v2, v5, vcc
	global_load_dwordx2 v[35:36], v[1:2], off
	v_mov_b32_e32 v5, s12
	v_add_co_u32_e32 v1, vcc, s17, v1
	v_addc_co_u32_e32 v2, vcc, v2, v5, vcc
	global_load_dwordx2 v[37:38], v[1:2], off
	v_mov_b32_e32 v5, s14
	v_add_co_u32_e32 v1, vcc, s15, v1
	v_addc_co_u32_e32 v2, vcc, v2, v5, vcc
	global_load_dwordx2 v[39:40], v[1:2], off
	v_add_co_u32_e32 v1, vcc, s15, v1
	v_addc_co_u32_e32 v2, vcc, v2, v5, vcc
	global_load_dwordx2 v[41:42], v[1:2], off
	;; [unrolled: 3-line block ×3, first 2 shown]
	v_fma_f32 v4, v6, v71, -v4
	s_waitcnt vmcnt(27)
	v_mul_f32_e32 v6, v8, v85
	v_mul_f32_e32 v5, v7, v85
	s_waitcnt vmcnt(26)
	v_mul_f32_e32 v43, v10, v81
	v_fmac_f32_e32 v6, v7, v84
	v_fma_f32 v7, v8, v84, -v5
	v_fmac_f32_e32 v43, v9, v80
	v_mul_f32_e32 v5, v9, v81
	s_waitcnt vmcnt(25)
	v_mul_f32_e32 v8, v12, v75
	v_mul_f32_e32 v9, v11, v75
	v_fmac_f32_e32 v8, v11, v74
	v_fma_f32 v9, v12, v74, -v9
	ds_write2st64_b64 v114, v[19:20], v[8:9] offset1:2
	s_waitcnt vmcnt(24)
	v_mul_f32_e32 v8, v14, v68
	v_fmac_f32_e32 v8, v13, v67
	v_mul_f32_e32 v9, v13, v68
	v_fma_f32 v44, v10, v80, -v5
	v_fma_f32 v9, v14, v67, -v9
	s_waitcnt vmcnt(23)
	v_mul_f32_e32 v10, v16, v60
	v_mul_f32_e32 v11, v15, v60
	v_fmac_f32_e32 v10, v15, v59
	v_fma_f32 v11, v16, v59, -v11
	ds_write2st64_b64 v114, v[6:7], v[10:11] offset0:20 offset1:22
	s_waitcnt vmcnt(22)
	v_mul_f32_e32 v6, v18, v52
	v_mul_f32_e32 v7, v17, v52
	s_waitcnt vmcnt(10)
	v_mul_f32_e32 v12, v24, v83
	v_mul_f32_e32 v13, v23, v83
	v_fmac_f32_e32 v12, v23, v82
	v_fma_f32 v13, v24, v82, -v13
	ds_write2st64_b64 v114, v[8:9], v[12:13] offset0:12 offset1:14
	s_waitcnt vmcnt(9)
	v_mul_f32_e32 v8, v25, v77
	v_fma_f32 v13, v26, v76, -v8
	v_fmac_f32_e32 v6, v17, v51
	v_fma_f32 v7, v18, v51, -v7
	v_mul_f32_e32 v10, v22, v48
	s_waitcnt vmcnt(8)
	v_mul_f32_e32 v8, v28, v70
	v_mul_f32_e32 v9, v27, v70
	v_fmac_f32_e32 v8, v27, v69
	v_fma_f32 v9, v28, v69, -v9
	v_mul_f32_e32 v11, v21, v48
	ds_write2st64_b64 v114, v[6:7], v[8:9] offset0:32 offset1:34
	s_waitcnt vmcnt(7)
	v_mul_f32_e32 v6, v30, v46
	v_mul_f32_e32 v7, v29, v46
	v_fmac_f32_e32 v10, v21, v47
	v_fma_f32 v11, v22, v47, -v11
	v_fmac_f32_e32 v6, v29, v45
	v_fma_f32 v7, v30, v45, -v7
	v_mul_f32_e32 v12, v26, v77
	ds_write2st64_b64 v114, v[10:11], v[6:7] offset0:4 offset1:6
	v_fmac_f32_e32 v12, v25, v76
	s_waitcnt vmcnt(6)
	v_mul_f32_e32 v6, v32, v66
	v_mul_f32_e32 v7, v31, v66
	s_waitcnt vmcnt(5)
	v_mul_f32_e32 v9, v34, v64
	v_mul_f32_e32 v10, v33, v64
	v_fmac_f32_e32 v9, v33, v63
	v_fma_f32 v10, v34, v63, -v10
	ds_write2st64_b64 v114, v[12:13], v[9:10] offset0:24 offset1:26
	v_fmac_f32_e32 v6, v31, v65
	v_fma_f32 v7, v32, v65, -v7
	s_waitcnt vmcnt(4)
	v_mul_f32_e32 v9, v36, v62
	v_mul_f32_e32 v10, v35, v62
	v_fmac_f32_e32 v9, v35, v61
	v_fma_f32 v10, v36, v61, -v10
	s_waitcnt vmcnt(3)
	v_mul_f32_e32 v11, v38, v58
	v_mul_f32_e32 v12, v37, v58
	v_fmac_f32_e32 v11, v37, v57
	v_fma_f32 v12, v38, v57, -v12
	ds_write2st64_b64 v114, v[11:12], v[3:4] offset0:8 offset1:10
	v_lshlrev_b32_e32 v8, 2, v0
	s_waitcnt vmcnt(2)
	v_mul_f32_e32 v3, v40, v56
	v_mul_f32_e32 v4, v39, v56
	v_fmac_f32_e32 v3, v39, v55
	v_fma_f32 v4, v40, v55, -v4
	ds_write2st64_b64 v114, v[6:7], v[3:4] offset0:16 offset1:18
	s_waitcnt vmcnt(1)
	v_mul_f32_e32 v3, v42, v54
	v_mul_f32_e32 v4, v41, v54
	v_fmac_f32_e32 v3, v41, v53
	v_fma_f32 v4, v42, v53, -v4
	ds_write2st64_b64 v114, v[3:4], v[43:44] offset0:28 offset1:30
	s_waitcnt vmcnt(0)
	v_mul_f32_e32 v3, v2, v50
	v_fmac_f32_e32 v3, v1, v49
	v_mul_f32_e32 v1, v1, v50
	v_fma_f32 v4, v2, v49, -v1
	ds_write2st64_b64 v114, v[9:10], v[3:4] offset0:36 offset1:38
	s_waitcnt lgkmcnt(0)
	s_barrier
	ds_read2st64_b64 v[1:4], v114 offset1:2
	ds_read2st64_b64 v[9:12], v114 offset0:8 offset1:10
	ds_read2st64_b64 v[13:16], v114 offset0:20 offset1:22
	;; [unrolled: 1-line block ×9, first 2 shown]
	s_waitcnt lgkmcnt(7)
	v_sub_f32_e32 v6, v1, v13
	v_sub_f32_e32 v7, v2, v14
	s_waitcnt lgkmcnt(6)
	v_sub_f32_e32 v14, v11, v19
	v_sub_f32_e32 v13, v12, v20
	v_fma_f32 v1, v1, 2.0, -v6
	v_fma_f32 v2, v2, 2.0, -v7
	;; [unrolled: 1-line block ×4, first 2 shown]
	v_sub_f32_e32 v13, v6, v13
	v_add_f32_e32 v14, v7, v14
	v_sub_f32_e32 v11, v1, v11
	v_sub_f32_e32 v12, v2, v12
	v_fma_f32 v88, v6, 2.0, -v13
	v_fma_f32 v89, v7, 2.0, -v14
	v_sub_f32_e32 v6, v3, v15
	v_sub_f32_e32 v7, v4, v16
	s_waitcnt lgkmcnt(4)
	v_sub_f32_e32 v15, v21, v25
	v_sub_f32_e32 v16, v22, v26
	v_fma_f32 v86, v1, 2.0, -v11
	v_fma_f32 v87, v2, 2.0, -v12
	;; [unrolled: 1-line block ×6, first 2 shown]
	v_sub_f32_e32 v1, v3, v1
	v_sub_f32_e32 v2, v4, v2
	v_fma_f32 v19, v3, 2.0, -v1
	v_fma_f32 v20, v4, 2.0, -v2
	v_sub_f32_e32 v3, v6, v16
	v_add_f32_e32 v4, v7, v15
	v_fma_f32 v21, v6, 2.0, -v3
	v_fma_f32 v22, v7, 2.0, -v4
	s_waitcnt lgkmcnt(2)
	v_sub_f32_e32 v6, v29, v33
	v_sub_f32_e32 v7, v30, v34
	;; [unrolled: 1-line block ×4, first 2 shown]
	v_fma_f32 v15, v29, 2.0, -v6
	v_fma_f32 v16, v30, 2.0, -v7
	;; [unrolled: 1-line block ×4, first 2 shown]
	v_sub_f32_e32 v25, v6, v25
	v_add_f32_e32 v26, v7, v26
	v_sub_f32_e32 v23, v15, v23
	v_sub_f32_e32 v24, v16, v24
	v_fma_f32 v29, v6, 2.0, -v25
	v_fma_f32 v30, v7, 2.0, -v26
	v_sub_f32_e32 v6, v31, v35
	v_sub_f32_e32 v7, v32, v36
	s_waitcnt lgkmcnt(0)
	v_sub_f32_e32 v34, v37, v41
	v_sub_f32_e32 v33, v38, v42
	v_fma_f32 v27, v15, 2.0, -v23
	v_fma_f32 v28, v16, 2.0, -v24
	;; [unrolled: 1-line block ×6, first 2 shown]
	v_sub_f32_e32 v33, v6, v33
	v_add_f32_e32 v34, v7, v34
	v_sub_f32_e32 v31, v15, v31
	v_sub_f32_e32 v32, v16, v32
	v_fma_f32 v37, v6, 2.0, -v33
	v_fma_f32 v38, v7, 2.0, -v34
	v_sub_f32_e32 v6, v9, v17
	v_sub_f32_e32 v7, v10, v18
	v_sub_f32_e32 v18, v39, v43
	v_sub_f32_e32 v17, v40, v44
	v_fma_f32 v35, v15, 2.0, -v31
	v_fma_f32 v36, v16, 2.0, -v32
	;; [unrolled: 1-line block ×6, first 2 shown]
	v_sub_f32_e32 v15, v9, v15
	v_sub_f32_e32 v16, v10, v16
	v_fma_f32 v39, v9, 2.0, -v15
	v_fma_f32 v40, v10, 2.0, -v16
	v_mad_u64_u32 v[9:10], s[8:9], v96, 24, s[10:11]
	v_sub_f32_e32 v17, v6, v17
	v_add_f32_e32 v18, v7, v18
	v_or_b32_e32 v5, 0x80, v0
	v_fma_f32 v41, v6, 2.0, -v17
	v_fma_f32 v42, v7, 2.0, -v18
	v_or_b32_e32 v6, 0x400, v8
	v_lshlrev_b32_e32 v110, 3, v8
	v_or_b32_e32 v7, 0x600, v8
	s_barrier
	ds_write_b128 v108, v[86:89]
	ds_write_b128 v108, v[11:14] offset:16
	v_lshlrev_b32_e32 v121, 5, v5
	ds_write_b128 v108, v[19:22] offset:4096
	ds_write_b128 v121, v[1:4] offset:16
	v_lshlrev_b32_e32 v118, 3, v6
	ds_write_b128 v110, v[27:30] offset:8192
	ds_write_b128 v118, v[23:26] offset:16
	v_lshlrev_b32_e32 v111, 3, v7
	ds_write_b128 v110, v[35:38] offset:12288
	ds_write_b128 v111, v[31:34] offset:16
	ds_write_b128 v108, v[39:42] offset:16384
	;; [unrolled: 1-line block ×3, first 2 shown]
	s_waitcnt lgkmcnt(0)
	s_barrier
	global_load_dwordx4 v[1:4], v[9:10], off
	global_load_dwordx2 v[86:87], v[9:10], off offset:16
	v_lshlrev_b32_e32 v9, 2, v90
	ds_read2st64_b64 v[11:14], v114 offset1:2
	ds_read2st64_b64 v[15:18], v114 offset0:8 offset1:10
	ds_read2st64_b64 v[19:22], v114 offset0:20 offset1:22
	;; [unrolled: 1-line block ×9, first 2 shown]
	s_movk_i32 s8, 0x1f0
	v_lshlrev_b32_e32 v10, 2, v5
	s_waitcnt vmcnt(0) lgkmcnt(0)
	s_barrier
	v_lshrrev_b32_e32 v5, 6, v5
	v_mul_u32_u24_e32 v5, 0x280, v5
	v_mul_f32_e32 v44, v20, v4
	v_fma_f32 v44, v19, v3, -v44
	v_mul_f32_e32 v19, v19, v4
	v_fmac_f32_e32 v19, v20, v3
	v_mul_f32_e32 v20, v22, v4
	v_fma_f32 v97, v21, v3, -v20
	v_mul_f32_e32 v20, v28, v2
	v_fma_f32 v99, v27, v1, -v20
	v_mul_f32_e32 v20, v30, v2
	v_mul_f32_e32 v27, v27, v2
	v_fma_f32 v100, v29, v1, -v20
	v_mul_f32_e32 v29, v29, v2
	v_mul_f32_e32 v20, v32, v87
	v_fmac_f32_e32 v27, v28, v1
	v_fmac_f32_e32 v29, v30, v1
	v_fma_f32 v28, v31, v86, -v20
	v_mul_f32_e32 v30, v31, v87
	v_mul_f32_e32 v20, v34, v87
	v_fmac_f32_e32 v30, v32, v86
	v_fma_f32 v31, v33, v86, -v20
	v_mul_f32_e32 v32, v33, v87
	v_mul_f32_e32 v20, v40, v4
	;; [unrolled: 4-line block ×3, first 2 shown]
	v_mul_f32_e32 v98, v21, v4
	v_fmac_f32_e32 v34, v40, v3
	v_fma_f32 v39, v41, v3, -v20
	v_mul_f32_e32 v40, v41, v4
	v_mul_f32_e32 v20, v89, v2
	;; [unrolled: 1-line block ×3, first 2 shown]
	v_fmac_f32_e32 v98, v22, v3
	v_fmac_f32_e32 v40, v42, v3
	v_fma_f32 v41, v88, v1, -v20
	v_mul_f32_e32 v42, v88, v2
	v_mul_f32_e32 v20, v91, v2
	;; [unrolled: 1-line block ×3, first 2 shown]
	v_fma_f32 v43, v17, v1, -v43
	v_fmac_f32_e32 v42, v89, v1
	v_fma_f32 v88, v90, v1, -v20
	v_mul_f32_e32 v89, v90, v2
	v_mul_f32_e32 v20, v26, v87
	;; [unrolled: 1-line block ×3, first 2 shown]
	v_fma_f32 v90, v23, v3, -v22
	v_mul_f32_e32 v22, v93, v87
	v_mul_f32_e32 v17, v17, v2
	v_fma_f32 v20, v25, v86, -v20
	v_fmac_f32_e32 v21, v26, v86
	v_fma_f32 v101, v92, v86, -v22
	v_mul_f32_e32 v92, v92, v87
	v_mul_f32_e32 v22, v95, v87
	v_fmac_f32_e32 v17, v18, v1
	v_fmac_f32_e32 v89, v91, v1
	v_mul_f32_e32 v91, v23, v4
	v_fmac_f32_e32 v92, v93, v86
	v_fma_f32 v93, v94, v86, -v22
	v_sub_f32_e32 v22, v11, v44
	v_sub_f32_e32 v23, v12, v19
	;; [unrolled: 1-line block ×4, first 2 shown]
	v_fma_f32 v18, v11, 2.0, -v22
	v_fma_f32 v19, v12, 2.0, -v23
	v_fma_f32 v11, v43, 2.0, -v20
	v_fma_f32 v12, v17, 2.0, -v21
	v_sub_f32_e32 v11, v18, v11
	v_sub_f32_e32 v12, v19, v12
	v_fma_f32 v17, v18, 2.0, -v11
	v_fma_f32 v18, v19, 2.0, -v12
	v_sub_f32_e32 v19, v22, v21
	v_add_f32_e32 v20, v23, v20
	v_sub_f32_e32 v43, v13, v97
	v_sub_f32_e32 v44, v14, v98
	;; [unrolled: 1-line block ×4, first 2 shown]
	v_fmac_f32_e32 v91, v24, v3
	v_fma_f32 v21, v22, 2.0, -v19
	v_fma_f32 v22, v23, 2.0, -v20
	;; [unrolled: 1-line block ×6, first 2 shown]
	v_sub_f32_e32 v25, v43, v25
	v_add_f32_e32 v26, v44, v26
	v_fma_f32 v27, v43, 2.0, -v25
	v_fma_f32 v28, v44, 2.0, -v26
	v_sub_f32_e32 v43, v35, v33
	v_sub_f32_e32 v44, v36, v34
	v_fma_f32 v33, v35, 2.0, -v43
	v_fma_f32 v34, v36, 2.0, -v44
	v_sub_f32_e32 v35, v100, v31
	v_sub_f32_e32 v36, v29, v32
	;; [unrolled: 4-line block ×3, first 2 shown]
	v_mul_f32_e32 v94, v94, v87
	v_fma_f32 v31, v33, 2.0, -v29
	v_fma_f32 v32, v34, 2.0, -v30
	v_sub_f32_e32 v33, v43, v36
	v_add_f32_e32 v34, v44, v35
	v_fmac_f32_e32 v94, v95, v86
	v_fma_f32 v35, v43, 2.0, -v33
	v_fma_f32 v36, v44, 2.0, -v34
	v_sub_f32_e32 v43, v37, v39
	v_sub_f32_e32 v44, v38, v40
	;; [unrolled: 1-line block ×4, first 2 shown]
	v_fma_f32 v39, v37, 2.0, -v43
	v_fma_f32 v40, v38, 2.0, -v44
	;; [unrolled: 1-line block ×4, first 2 shown]
	v_sub_f32_e32 v41, v43, v92
	v_sub_f32_e32 v92, v15, v90
	;; [unrolled: 1-line block ×3, first 2 shown]
	v_fma_f32 v90, v15, 2.0, -v92
	v_fma_f32 v15, v88, 2.0, -v93
	v_add_f32_e32 v42, v44, v95
	v_sub_f32_e32 v95, v16, v91
	v_sub_f32_e32 v94, v89, v94
	;; [unrolled: 1-line block ×3, first 2 shown]
	v_fma_f32 v91, v16, 2.0, -v95
	v_fma_f32 v16, v89, 2.0, -v94
	;; [unrolled: 1-line block ×3, first 2 shown]
	v_sub_f32_e32 v90, v92, v94
	v_and_or_b32 v94, v8, s8, v96
	v_lshlrev_b32_e32 v120, 3, v94
	s_movk_i32 s8, 0x3f0
	ds_write2_b64 v120, v[17:18], v[21:22] offset1:4
	ds_write2_b64 v120, v[11:12], v[19:20] offset0:8 offset1:12
	v_and_or_b32 v11, v10, s8, v96
	s_movk_i32 s8, 0x5f0
	v_lshlrev_b32_e32 v129, 3, v11
	v_and_or_b32 v11, v6, s8, v96
	s_movk_i32 s8, 0x7f0
	v_lshlrev_b32_e32 v126, 3, v11
	;; [unrolled: 3-line block ×3, first 2 shown]
	v_and_or_b32 v11, v9, s8, v96
	v_and_b32_e32 v94, 15, v0
	v_lshlrev_b32_e32 v112, 3, v11
	v_mad_u64_u32 v[11:12], s[8:9], v94, 24, s[10:11]
	v_sub_f32_e32 v16, v91, v16
	v_sub_f32_e32 v13, v23, v13
	;; [unrolled: 1-line block ×5, first 2 shown]
	v_fma_f32 v89, v91, 2.0, -v16
	v_add_f32_e32 v91, v95, v93
	v_fma_f32 v23, v23, 2.0, -v13
	v_fma_f32 v24, v24, 2.0, -v14
	v_fma_f32 v39, v39, 2.0, -v37
	v_fma_f32 v40, v40, 2.0, -v38
	v_fma_f32 v43, v43, 2.0, -v41
	v_fma_f32 v44, v44, 2.0, -v42
	v_fma_f32 v92, v92, 2.0, -v90
	v_fma_f32 v93, v95, 2.0, -v91
	ds_write2_b64 v129, v[23:24], v[27:28] offset1:4
	ds_write2_b64 v129, v[13:14], v[25:26] offset0:8 offset1:12
	ds_write2_b64 v126, v[31:32], v[35:36] offset1:4
	ds_write2_b64 v126, v[29:30], v[33:34] offset0:8 offset1:12
	;; [unrolled: 2-line block ×4, first 2 shown]
	s_waitcnt lgkmcnt(0)
	s_barrier
	global_load_dwordx4 v[13:16], v[11:12], off offset:96
	global_load_dwordx2 v[90:91], v[11:12], off offset:112
	ds_read2st64_b64 v[17:20], v114 offset0:20 offset1:22
	ds_read2st64_b64 v[21:24], v114 offset0:28 offset1:30
	;; [unrolled: 1-line block ×7, first 2 shown]
	s_movk_i32 s8, 0x1c0
	v_and_or_b32 v8, v8, s8, v94
	v_lshlrev_b32_e32 v113, 3, v8
	s_movk_i32 s8, 0x3c0
	s_waitcnt vmcnt(1) lgkmcnt(6)
	v_mul_f32_e32 v11, v18, v16
	v_fma_f32 v11, v17, v15, -v11
	v_mul_f32_e32 v12, v17, v16
	s_waitcnt vmcnt(0) lgkmcnt(5)
	v_mul_f32_e32 v17, v24, v91
	v_fma_f32 v88, v23, v90, -v17
	v_mul_f32_e32 v17, v20, v16
	v_fma_f32 v92, v19, v15, -v17
	s_waitcnt lgkmcnt(4)
	v_mul_f32_e32 v17, v26, v14
	v_fma_f32 v95, v25, v13, -v17
	v_mul_f32_e32 v17, v28, v14
	v_fma_f32 v97, v27, v13, -v17
	s_waitcnt lgkmcnt(3)
	v_mul_f32_e32 v17, v30, v91
	v_fma_f32 v99, v29, v90, -v17
	v_mul_f32_e32 v17, v32, v91
	v_fma_f32 v101, v31, v90, -v17
	v_mul_f32_e32 v31, v31, v91
	s_waitcnt lgkmcnt(2)
	v_mul_f32_e32 v17, v34, v16
	v_fmac_f32_e32 v31, v32, v90
	v_fma_f32 v32, v33, v15, -v17
	v_mul_f32_e32 v33, v33, v16
	v_mul_f32_e32 v17, v36, v16
	v_fmac_f32_e32 v33, v34, v15
	v_fma_f32 v34, v35, v15, -v17
	v_mul_f32_e32 v35, v35, v16
	s_waitcnt lgkmcnt(1)
	v_mul_f32_e32 v17, v38, v14
	v_fmac_f32_e32 v35, v36, v15
	v_fma_f32 v36, v37, v13, -v17
	v_mul_f32_e32 v17, v40, v14
	v_mul_f32_e32 v37, v37, v14
	v_fma_f32 v115, v39, v13, -v17
	s_waitcnt lgkmcnt(0)
	v_mul_f32_e32 v17, v42, v91
	v_mul_f32_e32 v93, v19, v16
	v_fmac_f32_e32 v37, v38, v13
	v_mul_f32_e32 v39, v39, v14
	v_fma_f32 v38, v41, v90, -v17
	v_mul_f32_e32 v17, v22, v16
	v_fmac_f32_e32 v12, v18, v15
	v_fmac_f32_e32 v93, v20, v15
	;; [unrolled: 1-line block ×3, first 2 shown]
	v_mul_f32_e32 v40, v41, v91
	v_fma_f32 v41, v21, v15, -v17
	ds_read2st64_b64 v[17:20], v114 offset0:8 offset1:10
	v_mul_f32_e32 v89, v23, v91
	v_fmac_f32_e32 v40, v42, v90
	v_mul_f32_e32 v42, v21, v16
	v_mul_f32_e32 v21, v44, v91
	v_fmac_f32_e32 v89, v24, v90
	v_fmac_f32_e32 v42, v22, v15
	v_fma_f32 v116, v43, v90, -v21
	ds_read2st64_b64 v[21:24], v114 offset1:2
	v_mul_f32_e32 v96, v25, v14
	s_waitcnt lgkmcnt(1)
	v_mul_f32_e32 v25, v20, v14
	v_fma_f32 v25, v19, v13, -v25
	v_mul_f32_e32 v19, v19, v14
	v_mul_f32_e32 v98, v27, v14
	;; [unrolled: 1-line block ×3, first 2 shown]
	v_fmac_f32_e32 v19, v20, v13
	v_fmac_f32_e32 v98, v28, v13
	;; [unrolled: 1-line block ×3, first 2 shown]
	s_waitcnt lgkmcnt(0)
	v_sub_f32_e32 v20, v21, v11
	v_sub_f32_e32 v30, v22, v12
	;; [unrolled: 1-line block ×4, first 2 shown]
	v_fma_f32 v11, v25, 2.0, -v28
	v_fma_f32 v12, v19, 2.0, -v27
	;; [unrolled: 1-line block ×4, first 2 shown]
	v_sub_f32_e32 v11, v19, v11
	v_sub_f32_e32 v12, v21, v12
	;; [unrolled: 1-line block ×3, first 2 shown]
	v_fmac_f32_e32 v96, v26, v13
	v_fma_f32 v25, v19, 2.0, -v11
	v_fma_f32 v26, v21, 2.0, -v12
	;; [unrolled: 1-line block ×3, first 2 shown]
	ds_read2st64_b64 v[19:22], v114 offset0:4 offset1:6
	v_add_f32_e32 v28, v30, v28
	v_fma_f32 v30, v30, 2.0, -v28
	s_waitcnt lgkmcnt(0)
	s_barrier
	ds_write2_b64 v113, v[25:26], v[29:30] offset1:16
	ds_write2_b64 v113, v[11:12], v[27:28] offset0:32 offset1:48
	v_sub_f32_e32 v29, v19, v32
	v_sub_f32_e32 v30, v20, v33
	v_mul_f32_e32 v43, v43, v91
	v_sub_f32_e32 v8, v23, v92
	v_sub_f32_e32 v25, v24, v93
	v_fma_f32 v26, v19, 2.0, -v29
	v_fma_f32 v27, v20, 2.0, -v30
	v_sub_f32_e32 v20, v95, v99
	v_sub_f32_e32 v19, v96, v100
	v_fmac_f32_e32 v43, v44, v90
	v_fma_f32 v23, v23, 2.0, -v8
	v_fma_f32 v24, v24, 2.0, -v25
	v_sub_f32_e32 v44, v21, v34
	v_fma_f32 v11, v95, 2.0, -v20
	v_fma_f32 v12, v96, 2.0, -v19
	v_sub_f32_e32 v19, v8, v19
	v_fma_f32 v33, v21, 2.0, -v44
	v_sub_f32_e32 v89, v17, v41
	v_sub_f32_e32 v92, v18, v42
	;; [unrolled: 1-line block ×4, first 2 shown]
	v_fma_f32 v21, v8, 2.0, -v19
	v_sub_f32_e32 v8, v97, v101
	v_sub_f32_e32 v28, v98, v31
	v_fma_f32 v41, v17, 2.0, -v89
	v_fma_f32 v42, v18, 2.0, -v92
	;; [unrolled: 1-line block ×6, first 2 shown]
	v_sub_f32_e32 v88, v22, v35
	v_add_f32_e32 v20, v25, v20
	v_sub_f32_e32 v23, v26, v23
	v_sub_f32_e32 v24, v27, v24
	v_fma_f32 v34, v22, 2.0, -v88
	v_fma_f32 v22, v25, 2.0, -v20
	;; [unrolled: 1-line block ×4, first 2 shown]
	v_sub_f32_e32 v27, v29, v28
	v_add_f32_e32 v28, v30, v8
	v_sub_f32_e32 v8, v36, v38
	v_sub_f32_e32 v35, v37, v40
	v_fma_f32 v31, v36, 2.0, -v8
	v_fma_f32 v32, v37, 2.0, -v35
	v_sub_f32_e32 v35, v44, v35
	v_add_f32_e32 v36, v88, v8
	v_sub_f32_e32 v8, v115, v116
	v_sub_f32_e32 v43, v39, v43
	v_fma_f32 v37, v44, 2.0, -v35
	v_fma_f32 v40, v115, 2.0, -v8
	;; [unrolled: 1-line block ×3, first 2 shown]
	v_sub_f32_e32 v39, v41, v40
	v_sub_f32_e32 v40, v42, v44
	v_add_f32_e32 v44, v92, v8
	v_and_or_b32 v8, v10, s8, v94
	s_movk_i32 s8, 0x5c0
	v_and_or_b32 v6, v6, s8, v94
	s_movk_i32 s8, 0x7c0
	v_sub_f32_e32 v43, v89, v43
	v_lshlrev_b32_e32 v122, 3, v6
	v_and_or_b32 v6, v7, s8, v94
	s_movk_i32 s8, 0x9c0
	v_fma_f32 v38, v88, 2.0, -v36
	v_fma_f32 v88, v89, 2.0, -v43
	;; [unrolled: 1-line block ×3, first 2 shown]
	v_mov_b32_e32 v93, s11
	v_lshlrev_b32_e32 v124, 3, v6
	v_and_or_b32 v6, v9, s8, v94
	v_mov_b32_e32 v92, s10
	v_lshlrev_b32_e32 v125, 3, v6
	v_and_b32_e32 v6, 63, v0
	s_movk_i32 s8, 0x48
	v_lshlrev_b32_e32 v136, 3, v8
	v_mad_u64_u32 v[7:8], s[8:9], v6, s8, v[92:93]
	v_sub_f32_e32 v31, v33, v31
	v_sub_f32_e32 v32, v34, v32
	v_fma_f32 v29, v29, 2.0, -v27
	v_fma_f32 v30, v30, 2.0, -v28
	;; [unrolled: 1-line block ×6, first 2 shown]
	ds_write2_b64 v136, v[17:18], v[21:22] offset1:16
	ds_write2_b64 v136, v[11:12], v[19:20] offset0:32 offset1:48
	ds_write2_b64 v122, v[25:26], v[29:30] offset1:16
	ds_write2_b64 v122, v[23:24], v[27:28] offset0:32 offset1:48
	;; [unrolled: 2-line block ×4, first 2 shown]
	s_waitcnt lgkmcnt(0)
	s_barrier
	global_load_dwordx4 v[37:40], v[7:8], off offset:480
	global_load_dwordx4 v[33:36], v[7:8], off offset:496
	;; [unrolled: 1-line block ×4, first 2 shown]
	global_load_dwordx2 v[100:101], v[7:8], off offset:544
	ds_read2st64_b64 v[7:10], v114 offset0:4 offset1:6
	ds_read2st64_b64 v[17:20], v114 offset0:8 offset1:10
	;; [unrolled: 1-line block ×6, first 2 shown]
	s_waitcnt vmcnt(4) lgkmcnt(5)
	v_mul_f32_e32 v11, v8, v38
	v_mul_f32_e32 v89, v7, v38
	v_fma_f32 v88, v7, v37, -v11
	v_fmac_f32_e32 v89, v8, v37
	v_mul_f32_e32 v7, v10, v38
	v_mul_f32_e32 v8, v9, v38
	v_fma_f32 v7, v9, v37, -v7
	v_fmac_f32_e32 v8, v10, v37
	s_waitcnt lgkmcnt(4)
	v_mul_f32_e32 v9, v18, v40
	s_waitcnt vmcnt(3) lgkmcnt(3)
	v_mul_f32_e32 v10, v22, v34
	v_fma_f32 v96, v17, v39, -v9
	v_mul_f32_e32 v9, v20, v40
	v_fma_f32 v93, v21, v33, -v10
	v_mul_f32_e32 v10, v24, v34
	v_mul_f32_e32 v94, v17, v40
	v_fma_f32 v9, v19, v39, -v9
	v_mul_f32_e32 v17, v19, v40
	;; [unrolled: 3-line block ×3, first 2 shown]
	s_waitcnt lgkmcnt(2)
	v_mul_f32_e32 v10, v26, v36
	v_fmac_f32_e32 v92, v22, v33
	v_fmac_f32_e32 v12, v24, v33
	v_fma_f32 v137, v25, v35, -v10
	v_mul_f32_e32 v98, v25, v36
	ds_read2st64_b64 v[22:25], v114 offset0:20 offset1:22
	v_fmac_f32_e32 v17, v20, v39
	v_mul_f32_e32 v10, v28, v36
	v_mul_f32_e32 v21, v27, v36
	v_fmac_f32_e32 v98, v26, v35
	s_waitcnt vmcnt(2) lgkmcnt(0)
	v_mul_f32_e32 v11, v23, v30
	v_fma_f32 v97, v22, v29, -v11
	v_mul_f32_e32 v11, v25, v30
	v_mul_f32_e32 v20, v24, v30
	v_fma_f32 v10, v27, v35, -v10
	v_fmac_f32_e32 v21, v28, v35
	v_mul_f32_e32 v95, v22, v30
	v_fma_f32 v22, v24, v29, -v11
	v_fmac_f32_e32 v20, v25, v29
	v_mul_f32_e32 v11, v143, v32
	ds_read2st64_b64 v[25:28], v114 offset0:28 offset1:30
	v_fma_f32 v141, v142, v31, -v11
	v_mul_f32_e32 v139, v142, v32
	v_mul_f32_e32 v11, v145, v32
	;; [unrolled: 1-line block ×3, first 2 shown]
	v_fmac_f32_e32 v139, v143, v31
	v_fma_f32 v11, v144, v31, -v11
	v_fmac_f32_e32 v24, v145, v31
	ds_read2st64_b64 v[142:145], v114 offset0:32 offset1:34
	v_fmac_f32_e32 v94, v18, v39
	s_waitcnt vmcnt(1) lgkmcnt(1)
	v_mul_f32_e32 v18, v26, v42
	v_fma_f32 v138, v25, v41, -v18
	v_mul_f32_e32 v18, v28, v42
	v_mul_f32_e32 v99, v25, v42
	v_fma_f32 v25, v27, v41, -v18
	s_waitcnt lgkmcnt(0)
	v_mul_f32_e32 v18, v143, v44
	v_fma_f32 v151, v142, v43, -v18
	v_mul_f32_e32 v152, v142, v44
	v_fmac_f32_e32 v99, v26, v41
	v_fmac_f32_e32 v152, v143, v43
	s_waitcnt vmcnt(0)
	v_mul_f32_e32 v26, v147, v101
	v_sub_f32_e32 v115, v96, v137
	v_sub_f32_e32 v116, v151, v141
	v_fma_f32 v142, v146, v100, -v26
	v_mul_f32_e32 v140, v146, v101
	v_add_f32_e32 v116, v115, v116
	v_sub_f32_e32 v115, v94, v98
	v_sub_f32_e32 v143, v152, v139
	v_fmac_f32_e32 v95, v23, v29
	v_fmac_f32_e32 v140, v147, v100
	v_add_f32_e32 v153, v115, v143
	v_sub_f32_e32 v115, v93, v97
	v_sub_f32_e32 v143, v142, v138
	v_add_f32_e32 v154, v115, v143
	v_sub_f32_e32 v115, v92, v95
	v_sub_f32_e32 v143, v140, v99
	v_add_f32_e32 v155, v115, v143
	v_add_f32_e32 v143, v95, v99
	v_mul_f32_e32 v23, v27, v42
	v_mul_f32_e32 v18, v145, v44
	;; [unrolled: 1-line block ×3, first 2 shown]
	v_add_f32_e32 v115, v97, v138
	v_fma_f32 v159, -0.5, v143, v89
	v_fma_f32 v18, v144, v43, -v18
	v_fmac_f32_e32 v27, v145, v43
	v_fma_f32 v156, -0.5, v115, v88
	v_sub_f32_e32 v160, v93, v142
	v_mov_b32_e32 v147, v159
	ds_read2st64_b64 v[143:146], v114 offset1:2
	v_sub_f32_e32 v157, v92, v140
	v_mov_b32_e32 v115, v156
	v_fmac_f32_e32 v147, 0xbf737871, v160
	v_sub_f32_e32 v161, v97, v138
	v_fmac_f32_e32 v115, 0x3f737871, v157
	v_sub_f32_e32 v158, v95, v99
	v_fmac_f32_e32 v147, 0xbf167918, v161
	v_fmac_f32_e32 v115, 0x3f167918, v158
	;; [unrolled: 1-line block ×4, first 2 shown]
	v_mul_f32_e32 v162, 0x3f167918, v147
	v_fmac_f32_e32 v162, 0x3f4f1bbd, v115
	v_mul_f32_e32 v163, 0xbf167918, v115
	s_waitcnt lgkmcnt(0)
	v_add_f32_e32 v115, v143, v96
	v_add_f32_e32 v115, v115, v137
	;; [unrolled: 1-line block ×5, first 2 shown]
	v_sub_f32_e32 v171, v96, v151
	v_sub_f32_e32 v173, v137, v141
	;; [unrolled: 1-line block ×3, first 2 shown]
	v_add_f32_e32 v96, v96, v151
	v_fma_f32 v165, -0.5, v115, v143
	v_add_f32_e32 v115, v144, v94
	v_sub_f32_e32 v141, v141, v151
	v_fma_f32 v96, -0.5, v96, v143
	v_sub_f32_e32 v168, v98, v139
	v_add_f32_e32 v115, v115, v98
	v_add_f32_e32 v137, v137, v141
	v_mov_b32_e32 v141, v96
	v_sub_f32_e32 v166, v94, v152
	v_add_f32_e32 v115, v115, v139
	v_fmac_f32_e32 v141, 0xbf737871, v168
	v_fmac_f32_e32 v96, 0x3f737871, v168
	v_add_f32_e32 v169, v115, v152
	v_add_f32_e32 v115, v98, v139
	v_fmac_f32_e32 v141, 0x3f167918, v166
	v_fmac_f32_e32 v96, 0xbf167918, v166
	v_sub_f32_e32 v98, v98, v94
	v_add_f32_e32 v94, v94, v152
	v_fmac_f32_e32 v141, 0x3e9e377a, v137
	v_fmac_f32_e32 v96, 0x3e9e377a, v137
	v_sub_f32_e32 v137, v139, v152
	v_fma_f32 v94, -0.5, v94, v144
	v_add_f32_e32 v98, v98, v137
	v_mov_b32_e32 v137, v94
	v_fmac_f32_e32 v137, 0x3f737871, v173
	v_fmac_f32_e32 v94, 0xbf737871, v173
	;; [unrolled: 1-line block ×4, first 2 shown]
	v_fma_f32 v170, -0.5, v115, v144
	v_add_f32_e32 v115, v88, v93
	v_fmac_f32_e32 v137, 0x3e9e377a, v98
	v_fmac_f32_e32 v94, 0x3e9e377a, v98
	v_add_f32_e32 v98, v93, v142
	v_add_f32_e32 v115, v115, v97
	v_fmac_f32_e32 v88, -0.5, v98
	v_sub_f32_e32 v93, v97, v93
	v_sub_f32_e32 v97, v138, v142
	v_add_f32_e32 v93, v93, v97
	v_mov_b32_e32 v97, v88
	v_fmac_f32_e32 v97, 0xbf737871, v158
	v_fmac_f32_e32 v88, 0x3f737871, v158
	;; [unrolled: 1-line block ×4, first 2 shown]
	v_add_f32_e32 v115, v115, v138
	v_fmac_f32_e32 v97, 0x3e9e377a, v93
	v_fmac_f32_e32 v88, 0x3e9e377a, v93
	v_add_f32_e32 v93, v92, v140
	v_add_f32_e32 v174, v115, v142
	;; [unrolled: 1-line block ×3, first 2 shown]
	v_fmac_f32_e32 v89, -0.5, v93
	v_sub_f32_e32 v92, v95, v92
	v_sub_f32_e32 v93, v99, v140
	v_add_f32_e32 v92, v92, v93
	v_mov_b32_e32 v93, v89
	v_fmac_f32_e32 v93, 0x3f737871, v161
	v_add_f32_e32 v115, v115, v95
	v_fmac_f32_e32 v93, 0xbf167918, v160
	v_fmac_f32_e32 v89, 0xbf737871, v161
	v_mov_b32_e32 v167, v165
	v_add_f32_e32 v115, v115, v99
	v_fmac_f32_e32 v93, 0x3e9e377a, v92
	v_fmac_f32_e32 v89, 0x3f167918, v160
	;; [unrolled: 1-line block ×5, first 2 shown]
	v_add_f32_e32 v175, v115, v140
	v_lshrrev_b32_e32 v115, 6, v0
	v_fmac_f32_e32 v89, 0x3e9e377a, v92
	v_mul_f32_e32 v95, 0x3f737871, v93
	v_fmac_f32_e32 v165, 0xbf737871, v166
	v_fmac_f32_e32 v156, 0xbf167918, v158
	;; [unrolled: 1-line block ×4, first 2 shown]
	v_mov_b32_e32 v172, v170
	v_mul_u32_u24_e32 v115, 0x280, v115
	v_fmac_f32_e32 v95, 0x3e9e377a, v97
	v_mul_f32_e32 v97, 0xbf737871, v97
	v_mul_f32_e32 v98, 0xbe9e377a, v88
	;; [unrolled: 1-line block ×3, first 2 shown]
	v_fmac_f32_e32 v165, 0xbf167918, v168
	v_fmac_f32_e32 v170, 0x3f737871, v171
	;; [unrolled: 1-line block ×6, first 2 shown]
	v_or_b32_e32 v115, v115, v6
	v_fmac_f32_e32 v97, 0x3e9e377a, v93
	v_fmac_f32_e32 v98, 0x3f737871, v89
	;; [unrolled: 1-line block ×5, first 2 shown]
	v_mul_f32_e32 v116, 0xbf4f1bbd, v156
	v_mul_f32_e32 v138, 0xbf4f1bbd, v159
	v_fmac_f32_e32 v172, 0xbf167918, v173
	v_lshlrev_b32_e32 v115, 3, v115
	v_add_f32_e32 v88, v141, v95
	v_add_f32_e32 v89, v137, v97
	;; [unrolled: 1-line block ×4, first 2 shown]
	v_fmac_f32_e32 v170, 0x3e9e377a, v153
	v_fmac_f32_e32 v116, 0x3f167918, v159
	;; [unrolled: 1-line block ×5, first 2 shown]
	s_barrier
	ds_write2st64_b64 v115, v[88:89], v[92:93] offset0:2 offset1:3
	v_sub_f32_e32 v88, v164, v174
	v_sub_f32_e32 v89, v169, v175
	v_add_f32_e32 v92, v165, v116
	v_add_f32_e32 v93, v170, v138
	ds_write2st64_b64 v115, v[92:93], v[88:89] offset0:4 offset1:5
	v_sub_f32_e32 v88, v167, v162
	v_sub_f32_e32 v89, v172, v163
	;; [unrolled: 1-line block ×4, first 2 shown]
	ds_write2st64_b64 v115, v[88:89], v[92:93] offset0:6 offset1:7
	v_sub_f32_e32 v92, v165, v116
	v_or_b32_e32 v116, v5, v6
	v_add_f32_e32 v5, v145, v9
	v_add_f32_e32 v5, v5, v10
	v_sub_f32_e32 v88, v96, v98
	v_sub_f32_e32 v89, v94, v99
	;; [unrolled: 1-line block ×3, first 2 shown]
	v_add_f32_e32 v5, v5, v11
	v_mul_f32_e32 v26, v149, v101
	ds_write2st64_b64 v115, v[88:89], v[92:93] offset0:8 offset1:9
	v_sub_f32_e32 v88, v9, v10
	v_sub_f32_e32 v89, v18, v11
	v_add_f32_e32 v141, v5, v18
	v_add_f32_e32 v5, v10, v11
	v_fmac_f32_e32 v23, v28, v41
	v_fma_f32 v28, v148, v100, -v26
	v_mul_f32_e32 v26, v148, v101
	v_add_f32_e32 v92, v88, v89
	v_sub_f32_e32 v88, v17, v21
	v_sub_f32_e32 v89, v27, v24
	v_fma_f32 v142, -0.5, v5, v145
	v_add_f32_e32 v5, v146, v17
	v_fmac_f32_e32 v26, v149, v100
	v_add_f32_e32 v93, v88, v89
	v_sub_f32_e32 v88, v19, v22
	v_sub_f32_e32 v89, v28, v25
	v_add_f32_e32 v5, v5, v21
	v_add_f32_e32 v147, v164, v174
	v_add_f32_e32 v148, v169, v175
	v_add_f32_e32 v149, v167, v162
	v_add_f32_e32 v150, v172, v163
	v_add_f32_e32 v94, v88, v89
	v_sub_f32_e32 v88, v12, v20
	v_sub_f32_e32 v89, v26, v23
	v_add_f32_e32 v5, v5, v24
	ds_write2st64_b64 v115, v[147:148], v[149:150] offset1:1
	v_add_f32_e32 v95, v88, v89
	v_add_f32_e32 v88, v22, v25
	;; [unrolled: 1-line block ×5, first 2 shown]
	v_fma_f32 v96, -0.5, v88, v7
	v_fma_f32 v99, -0.5, v89, v8
	;; [unrolled: 1-line block ×3, first 2 shown]
	v_add_f32_e32 v5, v7, v19
	v_sub_f32_e32 v97, v12, v26
	v_mov_b32_e32 v88, v96
	v_sub_f32_e32 v137, v19, v28
	v_mov_b32_e32 v89, v99
	v_add_f32_e32 v5, v5, v22
	v_fmac_f32_e32 v88, 0x3f737871, v97
	v_sub_f32_e32 v98, v20, v23
	v_fmac_f32_e32 v89, 0xbf737871, v137
	v_sub_f32_e32 v138, v22, v25
	v_add_f32_e32 v5, v5, v25
	v_fmac_f32_e32 v88, 0x3f167918, v98
	v_fmac_f32_e32 v89, 0xbf167918, v138
	v_sub_f32_e32 v143, v17, v27
	v_mov_b32_e32 v144, v142
	v_sub_f32_e32 v150, v9, v18
	v_mov_b32_e32 v151, v149
	v_add_f32_e32 v153, v5, v28
	v_add_f32_e32 v5, v8, v12
	v_fmac_f32_e32 v88, 0x3e9e377a, v94
	v_fmac_f32_e32 v89, 0x3e9e377a, v95
	v_fmac_f32_e32 v144, 0x3f737871, v143
	v_sub_f32_e32 v147, v21, v24
	v_fmac_f32_e32 v151, 0xbf737871, v150
	v_sub_f32_e32 v152, v10, v11
	v_add_f32_e32 v5, v5, v20
	v_mul_f32_e32 v139, 0x3f167918, v89
	v_mul_f32_e32 v140, 0xbf167918, v88
	v_fmac_f32_e32 v144, 0x3f167918, v147
	v_fmac_f32_e32 v151, 0xbf167918, v152
	v_add_f32_e32 v5, v5, v23
	v_fmac_f32_e32 v139, 0x3f4f1bbd, v88
	v_fmac_f32_e32 v140, 0x3f4f1bbd, v89
	;; [unrolled: 1-line block ×4, first 2 shown]
	v_add_f32_e32 v154, v5, v26
	v_add_f32_e32 v5, v141, v153
	;; [unrolled: 1-line block ×5, first 2 shown]
	v_lshlrev_b32_e32 v116, 3, v116
	ds_write2st64_b64 v116, v[5:6], v[88:89] offset1:1
	v_add_f32_e32 v5, v17, v27
	v_fmac_f32_e32 v146, -0.5, v5
	v_sub_f32_e32 v5, v21, v17
	v_sub_f32_e32 v6, v24, v27
	v_add_f32_e32 v17, v5, v6
	v_add_f32_e32 v5, v19, v28
	v_fmac_f32_e32 v7, -0.5, v5
	v_sub_f32_e32 v5, v22, v19
	v_sub_f32_e32 v6, v25, v28
	v_add_f32_e32 v19, v5, v6
	v_add_f32_e32 v5, v12, v26
	v_fmac_f32_e32 v8, -0.5, v5
	v_sub_f32_e32 v5, v20, v12
	v_sub_f32_e32 v6, v23, v26
	v_mov_b32_e32 v24, v8
	v_fmac_f32_e32 v8, 0xbf737871, v138
	v_add_f32_e32 v20, v5, v6
	v_mov_b32_e32 v23, v7
	v_fmac_f32_e32 v7, 0x3f737871, v98
	v_fmac_f32_e32 v8, 0x3f167918, v137
	v_add_f32_e32 v5, v9, v18
	v_mov_b32_e32 v22, v146
	v_fmac_f32_e32 v146, 0xbf737871, v152
	v_fmac_f32_e32 v7, 0xbf167918, v97
	;; [unrolled: 1-line block ×3, first 2 shown]
	v_fma_f32 v21, -0.5, v5, v145
	v_fmac_f32_e32 v146, 0x3f167918, v150
	v_fmac_f32_e32 v7, 0x3e9e377a, v19
	v_mul_f32_e32 v5, 0xbe9e377a, v8
	v_fmac_f32_e32 v23, 0xbf737871, v98
	v_fmac_f32_e32 v24, 0x3f737871, v138
	;; [unrolled: 1-line block ×6, first 2 shown]
	v_mov_b32_e32 v25, v21
	v_fmac_f32_e32 v23, 0x3f167918, v97
	v_fmac_f32_e32 v24, 0xbf167918, v137
	;; [unrolled: 1-line block ×4, first 2 shown]
	v_add_f32_e32 v6, v146, v5
	v_sub_f32_e32 v12, v146, v5
	v_sub_f32_e32 v5, v10, v9
	;; [unrolled: 1-line block ×3, first 2 shown]
	v_fmac_f32_e32 v21, 0x3f737871, v147
	v_fmac_f32_e32 v25, 0xbf737871, v147
	;; [unrolled: 1-line block ×7, first 2 shown]
	v_mad_u64_u32 v[94:95], s[8:9], v0, 24, s[10:11]
	v_add_f32_e32 v18, v5, v9
	v_mul_f32_e32 v7, 0xbe9e377a, v7
	v_fmac_f32_e32 v21, 0xbf167918, v143
	v_fmac_f32_e32 v25, 0x3f167918, v143
	;; [unrolled: 1-line block ×3, first 2 shown]
	v_mul_f32_e32 v19, 0x3f737871, v24
	v_mul_f32_e32 v20, 0xbf737871, v23
	v_fmac_f32_e32 v142, 0xbf737871, v143
	v_fmac_f32_e32 v149, 0x3f737871, v150
	v_fmac_f32_e32 v7, 0x3f737871, v8
	v_fmac_f32_e32 v21, 0x3e9e377a, v18
	v_fmac_f32_e32 v25, 0x3e9e377a, v18
	v_fmac_f32_e32 v22, 0x3e9e377a, v17
	v_fmac_f32_e32 v19, 0x3e9e377a, v23
	v_fmac_f32_e32 v20, 0x3e9e377a, v24
	v_fmac_f32_e32 v142, 0xbf167918, v147
	v_fmac_f32_e32 v149, 0x3f167918, v152
	v_mul_f32_e32 v23, 0xbf4f1bbd, v96
	v_mul_f32_e32 v24, 0xbf4f1bbd, v99
	v_add_f32_e32 v5, v21, v7
	v_sub_f32_e32 v9, v144, v139
	v_add_f32_e32 v17, v25, v19
	v_add_f32_e32 v18, v22, v20
	v_fmac_f32_e32 v142, 0x3e9e377a, v92
	v_fmac_f32_e32 v149, 0x3e9e377a, v93
	;; [unrolled: 1-line block ×4, first 2 shown]
	s_movk_i32 s8, 0x1000
	v_sub_f32_e32 v11, v21, v7
	v_sub_f32_e32 v7, v141, v153
	;; [unrolled: 1-line block ×6, first 2 shown]
	v_add_f32_e32 v21, v142, v23
	v_add_f32_e32 v22, v149, v24
	v_sub_f32_e32 v23, v142, v23
	v_sub_f32_e32 v24, v149, v24
	ds_write2st64_b64 v116, v[17:18], v[5:6] offset0:2 offset1:3
	ds_write2st64_b64 v116, v[21:22], v[7:8] offset0:4 offset1:5
	ds_write2st64_b64 v116, v[9:10], v[19:20] offset0:6 offset1:7
	ds_write2st64_b64 v116, v[11:12], v[23:24] offset0:8 offset1:9
	v_add_co_u32_e32 v9, vcc, s8, v94
	v_addc_co_u32_e32 v10, vcc, 0, v95, vcc
	s_waitcnt lgkmcnt(0)
	s_barrier
	global_load_dwordx4 v[5:8], v[9:10], off offset:992
	s_nop 0
	global_load_dwordx4 v[9:12], v[9:10], off offset:4064
	s_movk_i32 s9, 0x2000
	v_add_co_u32_e32 v17, vcc, s9, v94
	s_movk_i32 s8, 0x1fe0
	v_addc_co_u32_e32 v18, vcc, 0, v95, vcc
	v_add_co_u32_e32 v21, vcc, s8, v94
	global_load_dwordx4 v[17:20], v[17:18], off offset:3040
	v_addc_co_u32_e32 v22, vcc, 0, v95, vcc
	global_load_dwordx2 v[92:93], v[21:22], off offset:16
	s_movk_i32 s8, 0x2be0
	v_add_co_u32_e32 v21, vcc, s8, v94
	v_addc_co_u32_e32 v22, vcc, 0, v95, vcc
	global_load_dwordx2 v[88:89], v[21:22], off offset:16
	s_movk_i32 s8, 0x3000
	v_add_co_u32_e32 v21, vcc, s8, v94
	v_addc_co_u32_e32 v22, vcc, 0, v95, vcc
	global_load_dwordx4 v[21:24], v[21:22], off offset:2016
	s_movk_i32 s9, 0x4000
	v_add_co_u32_e32 v25, vcc, s9, v94
	s_movk_i32 s8, 0x13e0
	v_addc_co_u32_e32 v26, vcc, 0, v95, vcc
	global_load_dwordx4 v[25:28], v[25:26], off offset:992
	v_add_co_u32_e32 v96, vcc, s8, v94
	v_addc_co_u32_e32 v97, vcc, 0, v95, vcc
	global_load_dwordx2 v[98:99], v[96:97], off offset:16
	s_movk_i32 s8, 0x37e0
	v_add_co_u32_e32 v96, vcc, s8, v94
	v_addc_co_u32_e32 v97, vcc, 0, v95, vcc
	s_movk_i32 s8, 0x43e0
	v_add_co_u32_e32 v94, vcc, s8, v94
	global_load_dwordx2 v[96:97], v[96:97], off offset:16
	v_addc_co_u32_e32 v95, vcc, 0, v95, vcc
	global_load_dwordx2 v[94:95], v[94:95], off offset:16
	ds_read2st64_b64 v[137:140], v114 offset0:20 offset1:22
	s_waitcnt vmcnt(9) lgkmcnt(0)
	v_mul_f32_e32 v141, v138, v8
	v_fma_f32 v145, v137, v7, -v141
	ds_read2st64_b64 v[141:144], v114 offset0:12 offset1:14
	v_mul_f32_e32 v146, v137, v8
	s_waitcnt vmcnt(8)
	v_mul_f32_e32 v137, v140, v12
	v_fma_f32 v147, v139, v11, -v137
	v_mul_f32_e32 v148, v139, v12
	s_waitcnt lgkmcnt(0)
	v_mul_f32_e32 v137, v142, v10
	v_fmac_f32_e32 v146, v138, v7
	v_fmac_f32_e32 v148, v140, v11
	v_fma_f32 v149, v141, v9, -v137
	ds_read2st64_b64 v[137:140], v114 offset0:32 offset1:34
	v_mul_f32_e32 v150, v141, v10
	s_waitcnt vmcnt(7)
	v_mul_f32_e32 v141, v144, v18
	v_fma_f32 v151, v143, v17, -v141
	v_mul_f32_e32 v152, v143, v18
	s_waitcnt vmcnt(6) lgkmcnt(0)
	v_mul_f32_e32 v141, v138, v93
	v_fmac_f32_e32 v150, v142, v9
	v_fmac_f32_e32 v152, v144, v17
	v_fma_f32 v153, v137, v92, -v141
	ds_read2st64_b64 v[141:144], v114 offset0:24 offset1:26
	v_mul_f32_e32 v154, v137, v93
	s_waitcnt vmcnt(5)
	v_mul_f32_e32 v137, v140, v89
	v_fma_f32 v155, v139, v88, -v137
	v_mul_f32_e32 v156, v139, v89
	s_waitcnt lgkmcnt(0)
	v_mul_f32_e32 v137, v142, v20
	v_fmac_f32_e32 v154, v138, v92
	v_fmac_f32_e32 v156, v140, v88
	v_fma_f32 v157, v141, v19, -v137
	ds_read2st64_b64 v[137:140], v114 offset0:16 offset1:18
	v_mul_f32_e32 v158, v141, v20
	s_waitcnt vmcnt(4)
	v_mul_f32_e32 v141, v144, v24
	v_fma_f32 v159, v143, v23, -v141
	v_mul_f32_e32 v160, v143, v24
	s_waitcnt lgkmcnt(0)
	v_mul_f32_e32 v141, v138, v22
	v_fmac_f32_e32 v158, v142, v19
	v_fmac_f32_e32 v160, v144, v23
	v_fma_f32 v161, v137, v21, -v141
	ds_read2st64_b64 v[141:144], v114 offset0:28 offset1:30
	v_mul_f32_e32 v162, v137, v22
	s_waitcnt vmcnt(3)
	v_mul_f32_e32 v137, v140, v26
	v_fma_f32 v163, v139, v25, -v137
	v_mul_f32_e32 v164, v139, v26
	s_waitcnt vmcnt(2) lgkmcnt(0)
	v_mul_f32_e32 v137, v144, v99
	v_fmac_f32_e32 v162, v138, v21
	v_fmac_f32_e32 v164, v140, v25
	v_fma_f32 v165, v143, v98, -v137
	ds_read2st64_b64 v[137:140], v114 offset0:36 offset1:38
	v_mul_f32_e32 v166, v143, v99
	v_mul_f32_e32 v143, v142, v28
	v_fma_f32 v167, v141, v27, -v143
	v_mul_f32_e32 v168, v141, v28
	s_waitcnt vmcnt(1) lgkmcnt(0)
	v_mul_f32_e32 v141, v138, v97
	v_fmac_f32_e32 v166, v144, v98
	v_fmac_f32_e32 v168, v142, v27
	v_fma_f32 v169, v137, v96, -v141
	v_mul_f32_e32 v170, v137, v97
	ds_read2st64_b64 v[141:144], v114 offset1:2
	s_waitcnt vmcnt(0)
	v_mul_f32_e32 v137, v140, v95
	v_mul_f32_e32 v172, v139, v95
	v_fmac_f32_e32 v170, v138, v96
	v_fma_f32 v171, v139, v94, -v137
	v_fmac_f32_e32 v172, v140, v94
	ds_read2st64_b64 v[137:140], v114 offset0:8 offset1:10
	s_waitcnt lgkmcnt(1)
	v_sub_f32_e32 v147, v143, v147
	v_sub_f32_e32 v173, v141, v145
	v_fma_f32 v145, v143, 2.0, -v147
	v_sub_f32_e32 v174, v142, v146
	s_waitcnt lgkmcnt(0)
	v_mul_f32_e32 v143, v140, v6
	v_fma_f32 v143, v139, v5, -v143
	v_mul_f32_e32 v139, v139, v6
	v_fmac_f32_e32 v139, v140, v5
	v_sub_f32_e32 v165, v143, v165
	v_sub_f32_e32 v166, v139, v166
	;; [unrolled: 1-line block ×3, first 2 shown]
	v_fma_f32 v141, v141, 2.0, -v173
	v_fma_f32 v142, v142, 2.0, -v174
	;; [unrolled: 1-line block ×4, first 2 shown]
	v_sub_f32_e32 v153, v149, v153
	v_sub_f32_e32 v154, v150, v154
	v_fma_f32 v146, v144, 2.0, -v148
	v_sub_f32_e32 v139, v141, v140
	v_sub_f32_e32 v140, v142, v143
	v_fma_f32 v143, v149, 2.0, -v153
	v_fma_f32 v144, v150, 2.0, -v154
	v_sub_f32_e32 v143, v145, v143
	v_sub_f32_e32 v144, v146, v144
	v_fma_f32 v141, v141, 2.0, -v139
	v_fma_f32 v142, v142, 2.0, -v140
	;; [unrolled: 1-line block ×4, first 2 shown]
	ds_write2st64_b64 v114, v[141:142], v[145:146] offset1:2
	ds_write2st64_b64 v114, v[139:140], v[143:144] offset0:20 offset1:22
	ds_read2st64_b64 v[139:142], v114 offset0:4 offset1:6
	v_sub_f32_e32 v143, v147, v154
	v_add_f32_e32 v144, v148, v153
	v_sub_f32_e32 v155, v151, v155
	v_sub_f32_e32 v156, v152, v156
	s_waitcnt lgkmcnt(0)
	v_sub_f32_e32 v153, v139, v157
	v_sub_f32_e32 v154, v140, v158
	v_fma_f32 v145, v147, 2.0, -v143
	v_fma_f32 v146, v148, 2.0, -v144
	v_sub_f32_e32 v147, v153, v156
	v_add_f32_e32 v148, v154, v155
	v_fma_f32 v149, v153, 2.0, -v147
	v_fma_f32 v150, v154, 2.0, -v148
	ds_write2st64_b64 v114, v[145:146], v[149:150] offset0:12 offset1:14
	ds_write2st64_b64 v114, v[143:144], v[147:148] offset0:32 offset1:34
	v_fma_f32 v143, v139, 2.0, -v153
	v_fma_f32 v144, v140, 2.0, -v154
	;; [unrolled: 1-line block ×4, first 2 shown]
	v_sub_f32_e32 v147, v141, v159
	v_sub_f32_e32 v148, v142, v160
	;; [unrolled: 1-line block ×6, first 2 shown]
	v_fma_f32 v145, v141, 2.0, -v147
	v_fma_f32 v146, v142, 2.0, -v148
	;; [unrolled: 1-line block ×6, first 2 shown]
	v_sub_f32_e32 v143, v145, v143
	v_sub_f32_e32 v144, v146, v144
	v_fma_f32 v145, v145, 2.0, -v143
	v_fma_f32 v146, v146, 2.0, -v144
	ds_write2st64_b64 v114, v[141:142], v[145:146] offset0:4 offset1:6
	ds_write2st64_b64 v114, v[139:140], v[143:144] offset0:24 offset1:26
	v_sub_f32_e32 v151, v137, v167
	v_sub_f32_e32 v152, v138, v168
	;; [unrolled: 1-line block ×4, first 2 shown]
	v_fma_f32 v143, v137, 2.0, -v151
	v_fma_f32 v144, v138, 2.0, -v152
	;; [unrolled: 1-line block ×4, first 2 shown]
	v_sub_f32_e32 v137, v173, v166
	v_add_f32_e32 v138, v174, v165
	v_sub_f32_e32 v141, v143, v141
	v_sub_f32_e32 v142, v144, v142
	v_fma_f32 v139, v173, 2.0, -v137
	v_fma_f32 v140, v174, 2.0, -v138
	;; [unrolled: 1-line block ×4, first 2 shown]
	ds_write2st64_b64 v114, v[143:144], v[139:140] offset0:8 offset1:10
	v_sub_f32_e32 v139, v147, v150
	v_add_f32_e32 v140, v148, v149
	v_sub_f32_e32 v145, v151, v145
	v_add_f32_e32 v146, v152, v146
	v_fma_f32 v143, v147, 2.0, -v139
	v_fma_f32 v144, v148, 2.0, -v140
	;; [unrolled: 1-line block ×4, first 2 shown]
	ds_write2st64_b64 v114, v[143:144], v[147:148] offset0:16 offset1:18
	ds_write2st64_b64 v114, v[141:142], v[137:138] offset0:28 offset1:30
	ds_write2st64_b64 v114, v[139:140], v[145:146] offset0:36 offset1:38
	s_waitcnt lgkmcnt(0)
	s_barrier
	global_load_dwordx2 v[137:138], v114, s[6:7]
	global_load_dwordx2 v[139:140], v114, s[6:7] offset:1024
	global_load_dwordx2 v[141:142], v104, s[6:7]
	global_load_dwordx2 v[143:144], v106, s[6:7]
	;; [unrolled: 1-line block ×5, first 2 shown]
	s_nop 0
	global_load_dwordx2 v[106:107], v107, s[6:7]
	s_nop 0
	global_load_dwordx2 v[151:152], v128, s[6:7]
	global_load_dwordx2 v[153:154], v114, s[6:7] offset:2048
	global_load_dwordx2 v[155:156], v114, s[6:7] offset:3072
	global_load_dwordx2 v[157:158], v135, s[6:7]
	global_load_dwordx2 v[159:160], v103, s[6:7]
	;; [unrolled: 1-line block ×3, first 2 shown]
	s_nop 0
	global_load_dwordx2 v[127:128], v127, s[6:7]
	s_nop 0
	global_load_dwordx2 v[163:164], v123, s[6:7]
	global_load_dwordx2 v[165:166], v117, s[6:7]
	;; [unrolled: 1-line block ×4, first 2 shown]
	ds_read2st64_b64 v[102:105], v114 offset1:2
	global_load_dwordx2 v[134:135], v134, s[6:7]
	ds_read2st64_b64 v[130:133], v114 offset0:20 offset1:22
	s_waitcnt vmcnt(19) lgkmcnt(1)
	v_mul_f32_e32 v117, v103, v138
	v_fma_f32 v171, v102, v137, -v117
	v_mul_f32_e32 v172, v102, v138
	s_waitcnt vmcnt(18)
	v_mul_f32_e32 v102, v105, v140
	v_fmac_f32_e32 v172, v103, v137
	v_fma_f32 v137, v104, v139, -v102
	v_mul_f32_e32 v138, v104, v140
	s_waitcnt vmcnt(17) lgkmcnt(0)
	v_mul_f32_e32 v102, v131, v142
	v_fmac_f32_e32 v138, v105, v139
	v_fma_f32 v139, v130, v141, -v102
	ds_read2st64_b64 v[102:105], v114 offset0:12 offset1:14
	v_mul_f32_e32 v140, v130, v142
	s_waitcnt vmcnt(16)
	v_mul_f32_e32 v117, v133, v144
	v_mul_f32_e32 v142, v132, v144
	v_fmac_f32_e32 v140, v131, v141
	v_fma_f32 v141, v132, v143, -v117
	v_fmac_f32_e32 v142, v133, v143
	ds_read2st64_b64 v[130:133], v114 offset0:32 offset1:34
	s_waitcnt vmcnt(15) lgkmcnt(1)
	v_mul_f32_e32 v117, v103, v146
	v_fma_f32 v143, v102, v145, -v117
	v_mul_f32_e32 v144, v102, v146
	s_waitcnt vmcnt(14)
	v_mul_f32_e32 v102, v105, v148
	v_fmac_f32_e32 v144, v103, v145
	v_fma_f32 v145, v104, v147, -v102
	v_mul_f32_e32 v146, v104, v148
	s_waitcnt vmcnt(12) lgkmcnt(0)
	v_mul_f32_e32 v102, v131, v107
	v_fmac_f32_e32 v146, v105, v147
	v_fma_f32 v147, v130, v106, -v102
	v_mul_f32_e32 v148, v130, v107
	ds_read2st64_b64 v[102:105], v114 offset0:4 offset1:6
	v_fmac_f32_e32 v148, v131, v106
	s_waitcnt vmcnt(11)
	v_mul_f32_e32 v106, v133, v152
	v_mul_f32_e32 v174, v132, v152
	v_fma_f32 v173, v132, v151, -v106
	v_fmac_f32_e32 v174, v133, v151
	ds_read2st64_b64 v[130:133], v114 offset0:24 offset1:26
	s_waitcnt vmcnt(10) lgkmcnt(1)
	v_mul_f32_e32 v106, v103, v154
	v_fma_f32 v151, v102, v153, -v106
	v_mul_f32_e32 v152, v102, v154
	s_waitcnt vmcnt(9)
	v_mul_f32_e32 v102, v105, v156
	v_fmac_f32_e32 v152, v103, v153
	v_fma_f32 v153, v104, v155, -v102
	v_mul_f32_e32 v154, v104, v156
	s_waitcnt lgkmcnt(0)
	v_mul_f32_e32 v102, v131, v150
	v_fmac_f32_e32 v154, v105, v155
	v_fma_f32 v155, v130, v149, -v102
	ds_read2st64_b64 v[102:105], v114 offset0:8 offset1:10
	v_mul_f32_e32 v156, v130, v150
	v_fmac_f32_e32 v156, v131, v149
	s_waitcnt vmcnt(8)
	v_mul_f32_e32 v106, v133, v158
	v_mul_f32_e32 v131, v132, v158
	v_fma_f32 v130, v132, v157, -v106
	v_fmac_f32_e32 v131, v133, v157
	s_waitcnt vmcnt(6) lgkmcnt(0)
	v_mul_f32_e32 v106, v105, v162
	v_mul_f32_e32 v133, v104, v162
	v_fma_f32 v132, v104, v161, -v106
	v_fmac_f32_e32 v133, v105, v161
	ds_read2st64_b64 v[104:107], v114 offset0:16 offset1:18
	s_waitcnt vmcnt(5)
	v_mul_f32_e32 v117, v103, v128
	v_fma_f32 v149, v102, v127, -v117
	v_mul_f32_e32 v150, v102, v128
	v_fmac_f32_e32 v150, v103, v127
	s_waitcnt vmcnt(3) lgkmcnt(0)
	v_mul_f32_e32 v102, v105, v166
	v_mul_f32_e32 v128, v104, v166
	v_fma_f32 v127, v104, v165, -v102
	v_fmac_f32_e32 v128, v105, v165
	ds_read2st64_b64 v[102:105], v114 offset0:28 offset1:30
	s_waitcnt vmcnt(2)
	v_mul_f32_e32 v117, v107, v168
	v_fma_f32 v157, v106, v167, -v117
	v_mul_f32_e32 v158, v106, v168
	v_fmac_f32_e32 v158, v107, v167
	s_waitcnt lgkmcnt(0)
	v_mul_f32_e32 v106, v105, v160
	v_mul_f32_e32 v162, v104, v160
	v_fma_f32 v161, v104, v159, -v106
	v_fmac_f32_e32 v162, v105, v159
	ds_read2st64_b64 v[104:107], v114 offset0:36 offset1:38
	s_waitcnt vmcnt(1)
	v_mul_f32_e32 v117, v103, v170
	v_mul_f32_e32 v160, v102, v170
	v_fma_f32 v159, v102, v169, -v117
	v_fmac_f32_e32 v160, v103, v169
	s_waitcnt lgkmcnt(0)
	v_mul_f32_e32 v102, v105, v164
	v_mul_f32_e32 v103, v104, v164
	v_fma_f32 v102, v104, v163, -v102
	v_fmac_f32_e32 v103, v105, v163
	s_waitcnt vmcnt(0)
	v_mul_f32_e32 v104, v107, v135
	v_mul_f32_e32 v105, v106, v135
	v_fma_f32 v104, v106, v134, -v104
	v_fmac_f32_e32 v105, v107, v134
	ds_write2st64_b64 v114, v[171:172], v[137:138] offset1:2
	ds_write2st64_b64 v114, v[139:140], v[141:142] offset0:20 offset1:22
	ds_write2st64_b64 v114, v[143:144], v[145:146] offset0:12 offset1:14
	;; [unrolled: 1-line block ×9, first 2 shown]
	s_waitcnt lgkmcnt(0)
	s_barrier
	ds_read2st64_b64 v[102:105], v114 offset1:2
	ds_read2st64_b64 v[130:133], v114 offset0:20 offset1:22
	ds_read2st64_b64 v[137:140], v114 offset0:12 offset1:14
	;; [unrolled: 1-line block ×9, first 2 shown]
	s_waitcnt lgkmcnt(0)
	v_sub_f32_e32 v117, v104, v132
	v_sub_f32_e32 v123, v105, v133
	;; [unrolled: 1-line block ×4, first 2 shown]
	v_fma_f32 v106, v104, 2.0, -v117
	v_fma_f32 v107, v105, 2.0, -v123
	;; [unrolled: 1-line block ×4, first 2 shown]
	v_sub_f32_e32 v104, v106, v104
	v_sub_f32_e32 v105, v107, v105
	v_fma_f32 v132, v106, 2.0, -v104
	v_fma_f32 v133, v107, 2.0, -v105
	v_add_f32_e32 v106, v117, v128
	v_sub_f32_e32 v107, v123, v127
	v_fma_f32 v134, v117, 2.0, -v106
	v_fma_f32 v135, v123, 2.0, -v107
	s_barrier
	ds_write_b128 v121, v[104:107] offset:16
	v_sub_f32_e32 v107, v139, v143
	v_sub_f32_e32 v106, v140, v144
	v_sub_f32_e32 v117, v153, v157
	v_sub_f32_e32 v121, v154, v158
	v_fma_f32 v104, v139, 2.0, -v107
	v_fma_f32 v105, v140, 2.0, -v106
	;; [unrolled: 1-line block ×4, first 2 shown]
	v_sub_f32_e32 v104, v123, v104
	v_sub_f32_e32 v105, v127, v105
	v_add_f32_e32 v106, v117, v106
	v_sub_f32_e32 v107, v121, v107
	v_fma_f32 v137, v123, 2.0, -v104
	v_fma_f32 v138, v127, 2.0, -v105
	;; [unrolled: 1-line block ×4, first 2 shown]
	ds_write_b128 v118, v[104:107] offset:16
	ds_write_b128 v110, v[137:140] offset:8192
	v_sub_f32_e32 v117, v155, v159
	v_sub_f32_e32 v118, v156, v160
	;; [unrolled: 1-line block ×4, first 2 shown]
	v_fma_f32 v106, v155, 2.0, -v117
	v_fma_f32 v107, v156, 2.0, -v118
	;; [unrolled: 1-line block ×4, first 2 shown]
	v_sub_f32_e32 v104, v106, v104
	v_sub_f32_e32 v105, v107, v105
	v_fma_f32 v137, v106, 2.0, -v104
	v_fma_f32 v138, v107, 2.0, -v105
	v_add_f32_e32 v106, v117, v123
	v_sub_f32_e32 v107, v118, v121
	v_fma_f32 v139, v117, 2.0, -v106
	v_fma_f32 v140, v118, 2.0, -v107
	ds_write_b128 v110, v[137:140] offset:12288
	ds_write_b128 v111, v[104:107] offset:16
	v_sub_f32_e32 v106, v102, v130
	v_sub_f32_e32 v107, v103, v131
	;; [unrolled: 1-line block ×4, first 2 shown]
	v_fma_f32 v104, v102, 2.0, -v106
	v_fma_f32 v105, v103, 2.0, -v107
	;; [unrolled: 1-line block ×4, first 2 shown]
	v_sub_f32_e32 v102, v104, v102
	v_sub_f32_e32 v103, v105, v103
	v_fma_f32 v137, v104, 2.0, -v102
	v_fma_f32 v138, v105, 2.0, -v103
	v_add_f32_e32 v104, v106, v111
	v_sub_f32_e32 v105, v107, v110
	v_fma_f32 v139, v106, 2.0, -v104
	v_fma_f32 v140, v107, 2.0, -v105
	v_sub_f32_e32 v106, v145, v149
	v_sub_f32_e32 v107, v146, v150
	;; [unrolled: 1-line block ×4, first 2 shown]
	ds_write_b128 v108, v[137:140]
	ds_write_b128 v108, v[102:105] offset:16
	ds_write_b128 v108, v[132:135] offset:4096
	v_fma_f32 v104, v145, 2.0, -v106
	v_fma_f32 v105, v146, 2.0, -v107
	;; [unrolled: 1-line block ×4, first 2 shown]
	v_sub_f32_e32 v102, v104, v102
	v_sub_f32_e32 v103, v105, v103
	v_fma_f32 v130, v104, 2.0, -v102
	v_fma_f32 v131, v105, 2.0, -v103
	v_add_f32_e32 v104, v106, v111
	v_sub_f32_e32 v105, v107, v110
	v_fma_f32 v132, v106, 2.0, -v104
	v_fma_f32 v133, v107, 2.0, -v105
	ds_write_b128 v108, v[130:133] offset:16384
	ds_write_b128 v109, v[102:105] offset:16
	s_waitcnt lgkmcnt(0)
	s_barrier
	ds_read2st64_b64 v[102:105], v114 offset0:20 offset1:22
	ds_read2st64_b64 v[106:109], v114 offset0:12 offset1:14
	s_waitcnt lgkmcnt(1)
	v_mul_f32_e32 v117, v4, v103
	v_fmac_f32_e32 v117, v3, v102
	v_mul_f32_e32 v102, v4, v102
	v_fma_f32 v118, v3, v103, -v102
	v_mul_f32_e32 v102, v4, v104
	v_mul_f32_e32 v121, v4, v105
	v_fma_f32 v123, v3, v105, -v102
	s_waitcnt lgkmcnt(0)
	v_mul_f32_e32 v102, v2, v106
	v_fmac_f32_e32 v121, v3, v104
	v_fma_f32 v128, v1, v107, -v102
	ds_read2st64_b64 v[102:105], v114 offset0:32 offset1:34
	v_mul_f32_e32 v127, v2, v107
	v_fmac_f32_e32 v127, v1, v106
	v_mul_f32_e32 v130, v2, v109
	v_mul_f32_e32 v106, v2, v108
	v_fmac_f32_e32 v130, v1, v108
	v_fma_f32 v131, v1, v109, -v106
	ds_read2st64_b64 v[106:109], v114 offset0:24 offset1:26
	s_waitcnt lgkmcnt(1)
	v_mul_f32_e32 v132, v87, v103
	v_fmac_f32_e32 v132, v86, v102
	v_mul_f32_e32 v102, v87, v102
	v_fma_f32 v133, v86, v103, -v102
	v_mul_f32_e32 v102, v87, v104
	v_mul_f32_e32 v134, v87, v105
	v_fma_f32 v135, v86, v105, -v102
	s_waitcnt lgkmcnt(0)
	v_mul_f32_e32 v102, v4, v106
	v_fmac_f32_e32 v134, v86, v104
	v_fma_f32 v138, v3, v107, -v102
	ds_read2st64_b64 v[102:105], v114 offset0:16 offset1:18
	v_mul_f32_e32 v137, v4, v107
	v_fmac_f32_e32 v137, v3, v106
	v_mul_f32_e32 v139, v4, v109
	v_mul_f32_e32 v106, v4, v108
	v_fmac_f32_e32 v139, v3, v108
	v_fma_f32 v140, v3, v109, -v106
	ds_read2st64_b64 v[106:109], v114 offset0:36 offset1:38
	s_waitcnt lgkmcnt(1)
	v_mul_f32_e32 v141, v2, v103
	v_fmac_f32_e32 v141, v1, v102
	v_mul_f32_e32 v102, v2, v102
	v_fma_f32 v142, v1, v103, -v102
	v_mul_f32_e32 v102, v2, v104
	v_mul_f32_e32 v143, v2, v105
	v_fma_f32 v144, v1, v105, -v102
	s_waitcnt lgkmcnt(0)
	v_mul_f32_e32 v102, v87, v106
	v_fmac_f32_e32 v143, v1, v104
	v_fma_f32 v146, v86, v107, -v102
	ds_read2st64_b64 v[102:105], v114 offset0:28 offset1:30
	v_mul_f32_e32 v145, v87, v107
	v_fmac_f32_e32 v145, v86, v106
	v_mul_f32_e32 v147, v87, v109
	v_mul_f32_e32 v106, v87, v108
	s_waitcnt lgkmcnt(0)
	v_mul_f32_e32 v149, v87, v105
	v_mul_f32_e32 v87, v87, v104
	v_fmac_f32_e32 v147, v86, v108
	v_fma_f32 v148, v86, v109, -v106
	v_fmac_f32_e32 v149, v86, v104
	v_fma_f32 v86, v86, v105, -v87
	ds_read2st64_b64 v[104:107], v114 offset0:8 offset1:10
	ds_read2st64_b64 v[108:111], v114 offset1:2
	v_mul_f32_e32 v150, v4, v103
	v_mul_f32_e32 v4, v4, v102
	v_fmac_f32_e32 v150, v3, v102
	v_fma_f32 v151, v3, v103, -v4
	s_waitcnt lgkmcnt(1)
	v_mul_f32_e32 v3, v2, v107
	v_mul_f32_e32 v2, v2, v106
	v_fmac_f32_e32 v3, v1, v106
	v_fma_f32 v1, v1, v107, -v2
	s_waitcnt lgkmcnt(0)
	v_sub_f32_e32 v2, v108, v117
	v_sub_f32_e32 v4, v109, v118
	;; [unrolled: 1-line block ×4, first 2 shown]
	v_fma_f32 v3, v3, 2.0, -v107
	v_fma_f32 v1, v1, 2.0, -v106
	;; [unrolled: 1-line block ×4, first 2 shown]
	v_sub_f32_e32 v86, v102, v3
	v_sub_f32_e32 v87, v103, v1
	v_add_f32_e32 v106, v2, v106
	v_sub_f32_e32 v107, v4, v107
	v_fma_f32 v102, v102, 2.0, -v86
	v_fma_f32 v103, v103, 2.0, -v87
	;; [unrolled: 1-line block ×4, first 2 shown]
	ds_read2st64_b64 v[1:4], v114 offset0:4 offset1:6
	s_waitcnt lgkmcnt(0)
	s_barrier
	ds_write2_b64 v120, v[102:103], v[108:109] offset1:4
	ds_write2_b64 v120, v[86:87], v[106:107] offset0:8 offset1:12
	v_sub_f32_e32 v108, v110, v121
	v_sub_f32_e32 v109, v111, v123
	;; [unrolled: 1-line block ×4, first 2 shown]
	v_fma_f32 v102, v110, 2.0, -v108
	v_fma_f32 v103, v111, 2.0, -v109
	;; [unrolled: 1-line block ×4, first 2 shown]
	v_sub_f32_e32 v86, v102, v86
	v_sub_f32_e32 v87, v103, v87
	v_add_f32_e32 v106, v108, v106
	v_sub_f32_e32 v107, v109, v107
	v_fma_f32 v102, v102, 2.0, -v86
	v_fma_f32 v103, v103, 2.0, -v87
	;; [unrolled: 1-line block ×4, first 2 shown]
	ds_write2_b64 v129, v[102:103], v[108:109] offset1:4
	ds_write2_b64 v129, v[86:87], v[106:107] offset0:8 offset1:12
	v_sub_f32_e32 v106, v1, v137
	v_sub_f32_e32 v107, v2, v138
	;; [unrolled: 1-line block ×4, first 2 shown]
	v_fma_f32 v86, v130, 2.0, -v103
	v_fma_f32 v87, v131, 2.0, -v102
	;; [unrolled: 1-line block ×4, first 2 shown]
	v_sub_f32_e32 v1, v108, v86
	v_sub_f32_e32 v2, v109, v87
	v_add_f32_e32 v102, v106, v102
	v_sub_f32_e32 v103, v107, v103
	v_fma_f32 v86, v108, 2.0, -v1
	v_fma_f32 v87, v109, 2.0, -v2
	;; [unrolled: 1-line block ×4, first 2 shown]
	ds_write2_b64 v126, v[86:87], v[106:107] offset1:4
	ds_write2_b64 v126, v[1:2], v[102:103] offset0:8 offset1:12
	v_sub_f32_e32 v102, v3, v139
	v_sub_f32_e32 v103, v4, v140
	;; [unrolled: 1-line block ×8, first 2 shown]
	v_fma_f32 v3, v3, 2.0, -v102
	v_fma_f32 v4, v4, 2.0, -v103
	;; [unrolled: 1-line block ×8, first 2 shown]
	v_sub_f32_e32 v1, v3, v1
	v_sub_f32_e32 v2, v4, v2
	v_add_f32_e32 v86, v102, v86
	v_sub_f32_e32 v87, v103, v87
	v_sub_f32_e32 v104, v106, v104
	;; [unrolled: 1-line block ×3, first 2 shown]
	v_fma_f32 v3, v3, 2.0, -v1
	v_fma_f32 v4, v4, 2.0, -v2
	v_fma_f32 v102, v102, 2.0, -v86
	v_fma_f32 v103, v103, 2.0, -v87
	v_fma_f32 v106, v106, 2.0, -v104
	v_fma_f32 v107, v107, 2.0, -v105
	v_add_f32_e32 v108, v110, v108
	v_sub_f32_e32 v109, v111, v109
	v_fma_f32 v110, v110, 2.0, -v108
	v_fma_f32 v111, v111, 2.0, -v109
	ds_write2_b64 v119, v[3:4], v[102:103] offset1:4
	ds_write2_b64 v119, v[1:2], v[86:87] offset0:8 offset1:12
	ds_write2_b64 v112, v[106:107], v[110:111] offset1:4
	ds_write2_b64 v112, v[104:105], v[108:109] offset0:8 offset1:12
	s_waitcnt lgkmcnt(0)
	s_barrier
	ds_read2st64_b64 v[1:4], v114 offset0:20 offset1:22
	ds_read2st64_b64 v[102:105], v114 offset0:12 offset1:14
	;; [unrolled: 1-line block ×3, first 2 shown]
	s_waitcnt lgkmcnt(2)
	v_mul_f32_e32 v86, v16, v2
	v_fmac_f32_e32 v86, v15, v1
	v_mul_f32_e32 v1, v16, v1
	v_fma_f32 v87, v15, v2, -v1
	s_waitcnt lgkmcnt(1)
	v_mul_f32_e32 v1, v14, v102
	v_fma_f32 v111, v13, v103, -v1
	v_mul_f32_e32 v1, v16, v3
	v_fma_f32 v117, v15, v4, -v1
	s_waitcnt lgkmcnt(0)
	v_mul_f32_e32 v118, v91, v107
	v_mul_f32_e32 v1, v91, v106
	v_mul_f32_e32 v112, v16, v4
	v_fmac_f32_e32 v118, v90, v106
	v_fma_f32 v106, v90, v107, -v1
	v_mul_f32_e32 v1, v14, v104
	v_fmac_f32_e32 v112, v15, v3
	v_fma_f32 v119, v13, v105, -v1
	ds_read2st64_b64 v[1:4], v114 offset0:24 offset1:26
	v_mul_f32_e32 v110, v14, v103
	v_fmac_f32_e32 v110, v13, v102
	v_mul_f32_e32 v107, v14, v105
	v_mul_f32_e32 v120, v91, v109
	;; [unrolled: 1-line block ×3, first 2 shown]
	v_fmac_f32_e32 v107, v13, v104
	v_fmac_f32_e32 v120, v90, v108
	v_fma_f32 v108, v90, v109, -v102
	ds_read2st64_b64 v[102:105], v114 offset0:16 offset1:18
	s_waitcnt lgkmcnt(1)
	v_mul_f32_e32 v109, v16, v2
	v_fmac_f32_e32 v109, v15, v1
	v_mul_f32_e32 v1, v16, v1
	v_fma_f32 v121, v15, v2, -v1
	v_mul_f32_e32 v1, v16, v3
	v_mul_f32_e32 v123, v16, v4
	v_fma_f32 v126, v15, v4, -v1
	s_waitcnt lgkmcnt(0)
	v_mul_f32_e32 v1, v14, v102
	v_fmac_f32_e32 v123, v15, v3
	v_fma_f32 v128, v13, v103, -v1
	ds_read2st64_b64 v[1:4], v114 offset0:36 offset1:38
	v_mul_f32_e32 v127, v14, v103
	v_fmac_f32_e32 v127, v13, v102
	v_mul_f32_e32 v129, v14, v105
	v_mul_f32_e32 v102, v14, v104
	v_fmac_f32_e32 v129, v13, v104
	v_fma_f32 v130, v13, v105, -v102
	ds_read2st64_b64 v[102:105], v114 offset0:28 offset1:30
	s_waitcnt lgkmcnt(1)
	v_mul_f32_e32 v131, v91, v2
	v_fmac_f32_e32 v131, v90, v1
	v_mul_f32_e32 v1, v91, v1
	v_fma_f32 v132, v90, v2, -v1
	v_mul_f32_e32 v1, v91, v3
	v_mul_f32_e32 v133, v91, v4
	v_fma_f32 v134, v90, v4, -v1
	s_waitcnt lgkmcnt(0)
	v_mul_f32_e32 v135, v91, v105
	v_mul_f32_e32 v1, v91, v104
	v_fmac_f32_e32 v133, v90, v3
	v_fmac_f32_e32 v135, v90, v104
	v_fma_f32 v90, v90, v105, -v1
	ds_read2st64_b64 v[1:4], v114 offset0:8 offset1:10
	v_mul_f32_e32 v137, v16, v103
	v_mul_f32_e32 v16, v16, v102
	v_fmac_f32_e32 v137, v15, v102
	v_fma_f32 v138, v15, v103, -v16
	ds_read2st64_b64 v[102:105], v114 offset1:2
	s_waitcnt lgkmcnt(1)
	v_mul_f32_e32 v15, v14, v4
	v_fmac_f32_e32 v15, v13, v3
	v_mul_f32_e32 v3, v14, v3
	v_fma_f32 v3, v13, v4, -v3
	s_waitcnt lgkmcnt(0)
	v_sub_f32_e32 v13, v102, v86
	v_sub_f32_e32 v14, v103, v87
	;; [unrolled: 1-line block ×4, first 2 shown]
	v_fma_f32 v4, v15, 2.0, -v16
	v_fma_f32 v15, v3, 2.0, -v90
	;; [unrolled: 1-line block ×4, first 2 shown]
	v_sub_f32_e32 v3, v86, v4
	v_sub_f32_e32 v4, v87, v15
	v_add_f32_e32 v90, v13, v90
	v_sub_f32_e32 v91, v14, v16
	v_fma_f32 v86, v86, 2.0, -v3
	v_fma_f32 v87, v87, 2.0, -v4
	;; [unrolled: 1-line block ×4, first 2 shown]
	ds_read2st64_b64 v[13:16], v114 offset0:4 offset1:6
	s_waitcnt lgkmcnt(0)
	s_barrier
	ds_write2_b64 v113, v[86:87], v[102:103] offset1:16
	ds_write2_b64 v113, v[3:4], v[90:91] offset0:32 offset1:48
	v_sub_f32_e32 v102, v104, v112
	v_sub_f32_e32 v103, v105, v117
	;; [unrolled: 1-line block ×4, first 2 shown]
	v_fma_f32 v86, v104, 2.0, -v102
	v_fma_f32 v87, v105, 2.0, -v103
	v_fma_f32 v3, v110, 2.0, -v91
	v_fma_f32 v4, v111, 2.0, -v90
	v_sub_f32_e32 v3, v86, v3
	v_sub_f32_e32 v4, v87, v4
	v_add_f32_e32 v90, v102, v90
	v_sub_f32_e32 v91, v103, v91
	v_fma_f32 v86, v86, 2.0, -v3
	v_fma_f32 v87, v87, 2.0, -v4
	;; [unrolled: 1-line block ×4, first 2 shown]
	ds_write2_b64 v136, v[86:87], v[102:103] offset1:16
	ds_write2_b64 v136, v[3:4], v[90:91] offset0:32 offset1:48
	v_sub_f32_e32 v86, v13, v109
	v_sub_f32_e32 v106, v15, v123
	;; [unrolled: 1-line block ×5, first 2 shown]
	v_fma_f32 v102, v15, 2.0, -v106
	v_fma_f32 v103, v16, 2.0, -v109
	v_sub_f32_e32 v16, v107, v120
	v_sub_f32_e32 v15, v119, v108
	;; [unrolled: 1-line block ×3, first 2 shown]
	v_fma_f32 v90, v127, 2.0, -v105
	v_sub_f32_e32 v105, v109, v105
	v_sub_f32_e32 v112, v1, v137
	;; [unrolled: 1-line block ×5, first 2 shown]
	v_fma_f32 v13, v13, 2.0, -v86
	v_fma_f32 v14, v14, 2.0, -v87
	;; [unrolled: 1-line block ×10, first 2 shown]
	v_sub_f32_e32 v3, v13, v3
	v_sub_f32_e32 v4, v14, v4
	v_add_f32_e32 v15, v86, v15
	v_sub_f32_e32 v16, v87, v16
	v_sub_f32_e32 v90, v102, v90
	;; [unrolled: 1-line block ×5, first 2 shown]
	v_fma_f32 v13, v13, 2.0, -v3
	v_fma_f32 v14, v14, 2.0, -v4
	;; [unrolled: 1-line block ×6, first 2 shown]
	v_add_f32_e32 v104, v106, v104
	v_fma_f32 v108, v108, 2.0, -v1
	v_fma_f32 v109, v109, 2.0, -v2
	v_add_f32_e32 v110, v112, v110
	v_sub_f32_e32 v111, v113, v111
	v_fma_f32 v106, v106, 2.0, -v104
	v_fma_f32 v112, v112, 2.0, -v110
	;; [unrolled: 1-line block ×3, first 2 shown]
	ds_write2_b64 v122, v[13:14], v[86:87] offset1:16
	ds_write2_b64 v122, v[3:4], v[15:16] offset0:32 offset1:48
	ds_write2_b64 v124, v[102:103], v[106:107] offset1:16
	ds_write2_b64 v124, v[90:91], v[104:105] offset0:32 offset1:48
	;; [unrolled: 2-line block ×3, first 2 shown]
	s_waitcnt lgkmcnt(0)
	s_barrier
	ds_read2st64_b64 v[1:4], v114 offset0:4 offset1:6
	ds_read2st64_b64 v[13:16], v114 offset0:8 offset1:10
	ds_read2st64_b64 v[102:105], v114 offset0:12 offset1:14
	ds_read2st64_b64 v[108:111], v114 offset0:16 offset1:18
	ds_read2st64_b64 v[117:120], v114 offset0:20 offset1:22
	ds_read2st64_b64 v[121:124], v114 offset0:24 offset1:26
	s_waitcnt lgkmcnt(5)
	v_mul_f32_e32 v91, v38, v2
	v_fmac_f32_e32 v91, v37, v1
	v_mul_f32_e32 v1, v38, v1
	v_fma_f32 v113, v37, v2, -v1
	s_waitcnt lgkmcnt(4)
	v_mul_f32_e32 v90, v40, v14
	v_mul_f32_e32 v1, v40, v13
	v_fmac_f32_e32 v90, v39, v13
	v_fma_f32 v112, v39, v14, -v1
	v_mul_f32_e32 v1, v38, v3
	s_waitcnt lgkmcnt(3)
	v_mul_f32_e32 v13, v34, v102
	v_mul_f32_e32 v86, v38, v4
	v_fma_f32 v87, v37, v4, -v1
	v_mul_f32_e32 v1, v40, v15
	v_fma_f32 v38, v33, v103, -v13
	s_waitcnt lgkmcnt(2)
	v_mul_f32_e32 v13, v36, v108
	v_fmac_f32_e32 v86, v37, v3
	v_mul_f32_e32 v107, v40, v16
	v_fma_f32 v106, v39, v16, -v1
	ds_read2st64_b64 v[1:4], v114 offset0:28 offset1:30
	v_mul_f32_e32 v37, v34, v103
	v_fma_f32 v40, v35, v109, -v13
	v_mul_f32_e32 v13, v34, v104
	v_fmac_f32_e32 v37, v33, v102
	v_fma_f32 v102, v33, v105, -v13
	v_mul_f32_e32 v13, v36, v110
	v_fmac_f32_e32 v107, v39, v15
	v_mul_f32_e32 v39, v36, v109
	v_fma_f32 v109, v35, v111, -v13
	ds_read2st64_b64 v[13:16], v114 offset0:32 offset1:34
	v_mul_f32_e32 v103, v34, v105
	v_fmac_f32_e32 v103, v33, v104
	s_waitcnt lgkmcnt(3)
	v_mul_f32_e32 v33, v30, v118
	v_fmac_f32_e32 v33, v29, v117
	v_mul_f32_e32 v34, v30, v117
	s_waitcnt lgkmcnt(1)
	v_mul_f32_e32 v117, v42, v2
	v_mul_f32_e32 v125, v36, v111
	;; [unrolled: 1-line block ×4, first 2 shown]
	v_fmac_f32_e32 v117, v41, v1
	v_mul_f32_e32 v1, v42, v1
	v_fmac_f32_e32 v39, v35, v108
	v_fmac_f32_e32 v125, v35, v110
	v_fma_f32 v34, v29, v118, -v34
	v_mul_f32_e32 v35, v32, v122
	v_mul_f32_e32 v36, v32, v121
	v_fmac_f32_e32 v105, v29, v119
	v_fma_f32 v104, v29, v120, -v30
	v_mul_f32_e32 v110, v32, v124
	v_mul_f32_e32 v29, v32, v123
	v_fma_f32 v118, v41, v2, -v1
	s_waitcnt lgkmcnt(0)
	v_mul_f32_e32 v119, v44, v14
	v_mul_f32_e32 v1, v44, v13
	v_fmac_f32_e32 v35, v31, v121
	v_fma_f32 v36, v31, v122, -v36
	v_fmac_f32_e32 v110, v31, v123
	v_fma_f32 v111, v31, v124, -v29
	ds_read2st64_b64 v[29:32], v114 offset0:36 offset1:38
	v_fmac_f32_e32 v119, v43, v13
	v_fma_f32 v13, v43, v14, -v1
	v_mul_f32_e32 v108, v42, v4
	v_mul_f32_e32 v1, v42, v3
	v_fmac_f32_e32 v108, v41, v3
	v_fma_f32 v41, v41, v4, -v1
	v_mul_f32_e32 v120, v44, v16
	v_mul_f32_e32 v1, v44, v15
	v_fmac_f32_e32 v120, v43, v15
	v_fma_f32 v43, v43, v16, -v1
	ds_read2st64_b64 v[1:4], v114 offset1:2
	s_waitcnt lgkmcnt(1)
	v_mul_f32_e32 v14, v101, v30
	v_fmac_f32_e32 v14, v100, v29
	v_mul_f32_e32 v15, v101, v29
	v_mul_f32_e32 v44, v101, v32
	;; [unrolled: 1-line block ×3, first 2 shown]
	v_add_f32_e32 v29, v39, v35
	v_fma_f32 v15, v100, v30, -v15
	v_fmac_f32_e32 v44, v100, v31
	v_fma_f32 v42, v100, v32, -v16
	s_waitcnt lgkmcnt(0)
	v_fma_f32 v100, -0.5, v29, v1
	v_sub_f32_e32 v29, v112, v13
	v_mov_b32_e32 v30, v100
	v_fmac_f32_e32 v30, 0xbf737871, v29
	v_sub_f32_e32 v31, v40, v36
	v_sub_f32_e32 v32, v90, v39
	;; [unrolled: 1-line block ×3, first 2 shown]
	v_fmac_f32_e32 v100, 0x3f737871, v29
	v_fmac_f32_e32 v30, 0xbf167918, v31
	v_add_f32_e32 v32, v32, v101
	v_fmac_f32_e32 v100, 0x3f167918, v31
	v_fmac_f32_e32 v30, 0x3e9e377a, v32
	v_fmac_f32_e32 v100, 0x3e9e377a, v32
	v_add_f32_e32 v32, v90, v119
	v_add_f32_e32 v16, v1, v90
	v_fma_f32 v1, -0.5, v32, v1
	v_sub_f32_e32 v32, v39, v90
	v_sub_f32_e32 v101, v35, v119
	v_add_f32_e32 v32, v32, v101
	v_mov_b32_e32 v101, v1
	v_fmac_f32_e32 v101, 0x3f737871, v31
	v_fmac_f32_e32 v1, 0xbf737871, v31
	v_add_f32_e32 v31, v40, v36
	v_fmac_f32_e32 v101, 0xbf167918, v29
	v_fmac_f32_e32 v1, 0x3f167918, v29
	v_fma_f32 v121, -0.5, v31, v2
	v_add_f32_e32 v16, v16, v39
	v_fmac_f32_e32 v101, 0x3e9e377a, v32
	v_fmac_f32_e32 v1, 0x3e9e377a, v32
	v_sub_f32_e32 v31, v90, v119
	v_mov_b32_e32 v32, v121
	v_add_f32_e32 v16, v16, v35
	v_fmac_f32_e32 v32, 0x3f737871, v31
	v_sub_f32_e32 v35, v39, v35
	v_sub_f32_e32 v39, v112, v40
	;; [unrolled: 1-line block ×3, first 2 shown]
	v_fmac_f32_e32 v121, 0xbf737871, v31
	v_fmac_f32_e32 v32, 0x3f167918, v35
	v_add_f32_e32 v39, v39, v90
	v_fmac_f32_e32 v121, 0xbf167918, v35
	v_fmac_f32_e32 v32, 0x3e9e377a, v39
	;; [unrolled: 1-line block ×3, first 2 shown]
	v_add_f32_e32 v39, v112, v13
	v_add_f32_e32 v29, v2, v112
	v_fma_f32 v2, -0.5, v39, v2
	v_add_f32_e32 v16, v16, v119
	v_mov_b32_e32 v119, v2
	v_add_f32_e32 v29, v29, v40
	v_fmac_f32_e32 v119, 0xbf737871, v35
	v_fmac_f32_e32 v2, 0x3f737871, v35
	v_add_f32_e32 v29, v29, v36
	v_fmac_f32_e32 v119, 0x3f167918, v31
	v_fmac_f32_e32 v2, 0xbf167918, v31
	v_add_f32_e32 v31, v33, v117
	v_add_f32_e32 v29, v29, v13
	v_sub_f32_e32 v39, v40, v112
	v_sub_f32_e32 v13, v36, v13
	v_fma_f32 v31, -0.5, v31, v91
	v_add_f32_e32 v13, v39, v13
	v_sub_f32_e32 v35, v38, v15
	v_mov_b32_e32 v36, v31
	v_sub_f32_e32 v39, v37, v33
	v_sub_f32_e32 v40, v14, v117
	v_fmac_f32_e32 v36, 0xbf737871, v35
	v_add_f32_e32 v39, v39, v40
	v_sub_f32_e32 v40, v34, v118
	v_fmac_f32_e32 v31, 0x3f737871, v35
	v_fmac_f32_e32 v36, 0xbf167918, v40
	;; [unrolled: 1-line block ×5, first 2 shown]
	v_add_f32_e32 v13, v91, v37
	v_fmac_f32_e32 v36, 0x3e9e377a, v39
	v_fmac_f32_e32 v31, 0x3e9e377a, v39
	v_add_f32_e32 v39, v37, v14
	v_fmac_f32_e32 v91, -0.5, v39
	v_add_f32_e32 v13, v13, v33
	v_mov_b32_e32 v122, v91
	v_add_f32_e32 v13, v13, v117
	v_fmac_f32_e32 v122, 0x3f737871, v40
	v_fmac_f32_e32 v91, 0xbf737871, v40
	v_add_f32_e32 v40, v13, v14
	v_add_f32_e32 v13, v113, v38
	;; [unrolled: 1-line block ×3, first 2 shown]
	v_sub_f32_e32 v39, v33, v37
	v_sub_f32_e32 v90, v117, v14
	v_add_f32_e32 v13, v13, v118
	v_add_f32_e32 v39, v39, v90
	v_fmac_f32_e32 v122, 0xbf167918, v35
	v_fmac_f32_e32 v91, 0x3f167918, v35
	v_add_f32_e32 v35, v13, v15
	v_add_f32_e32 v13, v34, v118
	v_fmac_f32_e32 v122, 0x3e9e377a, v39
	v_fmac_f32_e32 v91, 0x3e9e377a, v39
	v_fma_f32 v13, -0.5, v13, v113
	v_sub_f32_e32 v14, v37, v14
	v_sub_f32_e32 v37, v38, v34
	;; [unrolled: 1-line block ×3, first 2 shown]
	v_add_f32_e32 v37, v37, v39
	v_mov_b32_e32 v39, v13
	v_sub_f32_e32 v33, v33, v117
	v_fmac_f32_e32 v39, 0x3f737871, v14
	v_fmac_f32_e32 v13, 0xbf737871, v14
	;; [unrolled: 1-line block ×6, first 2 shown]
	v_add_f32_e32 v37, v38, v15
	v_fmac_f32_e32 v113, -0.5, v37
	v_mov_b32_e32 v37, v113
	v_fmac_f32_e32 v37, 0xbf737871, v33
	v_sub_f32_e32 v34, v34, v38
	v_sub_f32_e32 v15, v118, v15
	v_fmac_f32_e32 v113, 0x3f737871, v33
	v_fmac_f32_e32 v37, 0x3f167918, v14
	v_add_f32_e32 v15, v34, v15
	v_fmac_f32_e32 v113, 0xbf167918, v14
	v_fmac_f32_e32 v37, 0x3e9e377a, v15
	;; [unrolled: 1-line block ×3, first 2 shown]
	v_mul_f32_e32 v14, 0xbf167918, v39
	v_mul_f32_e32 v34, 0x3f4f1bbd, v39
	v_fmac_f32_e32 v14, 0x3f4f1bbd, v36
	v_mul_f32_e32 v33, 0xbf737871, v37
	v_fmac_f32_e32 v34, 0x3f167918, v36
	;; [unrolled: 2-line block ×3, first 2 shown]
	v_fmac_f32_e32 v36, 0xbe9e377a, v91
	v_mul_f32_e32 v38, 0x3e9e377a, v37
	v_mul_f32_e32 v117, 0xbf167918, v13
	;; [unrolled: 1-line block ×3, first 2 shown]
	v_add_f32_e32 v90, v16, v40
	v_fmac_f32_e32 v38, 0x3f737871, v122
	v_fmac_f32_e32 v117, 0xbf4f1bbd, v31
	;; [unrolled: 1-line block ×3, first 2 shown]
	v_mul_f32_e32 v122, 0xbf4f1bbd, v13
	v_add_f32_e32 v13, v101, v33
	v_add_f32_e32 v91, v29, v35
	v_sub_f32_e32 v15, v16, v40
	v_sub_f32_e32 v16, v29, v35
	v_add_f32_e32 v29, v1, v36
	v_sub_f32_e32 v37, v101, v33
	v_sub_f32_e32 v33, v1, v36
	v_add_f32_e32 v1, v125, v110
	v_add_f32_e32 v39, v100, v117
	v_sub_f32_e32 v35, v100, v117
	v_fma_f32 v117, -0.5, v1, v3
	v_add_f32_e32 v112, v30, v14
	v_fmac_f32_e32 v122, 0x3f167918, v31
	v_add_f32_e32 v113, v32, v34
	v_sub_f32_e32 v31, v30, v14
	v_sub_f32_e32 v32, v32, v34
	v_add_f32_e32 v30, v2, v118
	v_sub_f32_e32 v34, v2, v118
	v_sub_f32_e32 v1, v106, v43
	v_mov_b32_e32 v118, v117
	v_fmac_f32_e32 v118, 0xbf737871, v1
	v_sub_f32_e32 v2, v109, v111
	v_sub_f32_e32 v100, v107, v125
	;; [unrolled: 1-line block ×3, first 2 shown]
	v_fmac_f32_e32 v117, 0x3f737871, v1
	v_fmac_f32_e32 v118, 0xbf167918, v2
	v_add_f32_e32 v100, v100, v101
	v_fmac_f32_e32 v117, 0x3f167918, v2
	v_fmac_f32_e32 v118, 0x3e9e377a, v100
	;; [unrolled: 1-line block ×3, first 2 shown]
	v_sub_f32_e32 v100, v125, v107
	v_sub_f32_e32 v101, v110, v120
	v_add_f32_e32 v100, v100, v101
	v_add_f32_e32 v101, v107, v120
	v_fma_f32 v101, -0.5, v101, v3
	v_add_f32_e32 v14, v119, v38
	v_sub_f32_e32 v38, v119, v38
	v_mov_b32_e32 v119, v101
	v_fmac_f32_e32 v119, 0x3f737871, v2
	v_fmac_f32_e32 v101, 0xbf737871, v2
	;; [unrolled: 1-line block ×4, first 2 shown]
	v_add_f32_e32 v1, v3, v107
	v_add_f32_e32 v1, v1, v125
	;; [unrolled: 1-line block ×4, first 2 shown]
	v_sub_f32_e32 v36, v121, v122
	v_add_f32_e32 v121, v1, v120
	v_add_f32_e32 v1, v109, v111
	v_fma_f32 v122, -0.5, v1, v4
	v_sub_f32_e32 v1, v107, v120
	v_mov_b32_e32 v120, v122
	v_fmac_f32_e32 v119, 0x3e9e377a, v100
	v_fmac_f32_e32 v101, 0x3e9e377a, v100
	v_sub_f32_e32 v2, v125, v110
	v_sub_f32_e32 v3, v106, v109
	;; [unrolled: 1-line block ×3, first 2 shown]
	v_fmac_f32_e32 v120, 0x3f737871, v1
	v_fmac_f32_e32 v122, 0xbf737871, v1
	v_add_f32_e32 v3, v3, v100
	v_fmac_f32_e32 v120, 0x3f167918, v2
	v_fmac_f32_e32 v122, 0xbf167918, v2
	;; [unrolled: 1-line block ×4, first 2 shown]
	v_add_f32_e32 v3, v4, v106
	v_add_f32_e32 v100, v106, v43
	v_fmac_f32_e32 v4, -0.5, v100
	v_add_f32_e32 v3, v3, v109
	v_add_f32_e32 v3, v3, v111
	v_mov_b32_e32 v123, v4
	v_add_f32_e32 v107, v3, v43
	v_sub_f32_e32 v3, v109, v106
	v_fmac_f32_e32 v123, 0xbf737871, v2
	v_sub_f32_e32 v43, v111, v43
	v_fmac_f32_e32 v4, 0x3f737871, v2
	v_fmac_f32_e32 v123, 0x3f167918, v1
	v_add_f32_e32 v3, v3, v43
	v_fmac_f32_e32 v4, 0xbf167918, v1
	v_add_f32_e32 v1, v105, v108
	v_fmac_f32_e32 v123, 0x3e9e377a, v3
	v_fmac_f32_e32 v4, 0x3e9e377a, v3
	v_fma_f32 v3, -0.5, v1, v86
	v_sub_f32_e32 v1, v102, v42
	v_mov_b32_e32 v100, v3
	v_sub_f32_e32 v2, v103, v105
	v_sub_f32_e32 v43, v44, v108
	v_fmac_f32_e32 v100, 0xbf737871, v1
	v_add_f32_e32 v2, v2, v43
	v_sub_f32_e32 v43, v104, v41
	v_fmac_f32_e32 v3, 0x3f737871, v1
	v_fmac_f32_e32 v100, 0xbf167918, v43
	;; [unrolled: 1-line block ×3, first 2 shown]
	v_add_f32_e32 v106, v103, v44
	v_fmac_f32_e32 v100, 0x3e9e377a, v2
	v_fmac_f32_e32 v3, 0x3e9e377a, v2
	v_add_f32_e32 v2, v86, v103
	v_fmac_f32_e32 v86, -0.5, v106
	v_sub_f32_e32 v106, v105, v103
	v_sub_f32_e32 v109, v108, v44
	v_add_f32_e32 v106, v106, v109
	v_mov_b32_e32 v109, v86
	v_fmac_f32_e32 v109, 0x3f737871, v43
	v_fmac_f32_e32 v86, 0xbf737871, v43
	;; [unrolled: 1-line block ×4, first 2 shown]
	v_add_f32_e32 v1, v2, v105
	v_add_f32_e32 v1, v1, v108
	;; [unrolled: 1-line block ×4, first 2 shown]
	v_fmac_f32_e32 v109, 0x3e9e377a, v106
	v_fmac_f32_e32 v86, 0x3e9e377a, v106
	v_fma_f32 v106, -0.5, v1, v87
	v_sub_f32_e32 v43, v103, v44
	v_mov_b32_e32 v103, v106
	v_sub_f32_e32 v44, v105, v108
	v_sub_f32_e32 v1, v102, v104
	;; [unrolled: 1-line block ×3, first 2 shown]
	v_fmac_f32_e32 v103, 0x3f737871, v43
	v_fmac_f32_e32 v106, 0xbf737871, v43
	v_add_f32_e32 v1, v1, v2
	v_fmac_f32_e32 v103, 0x3f167918, v44
	v_fmac_f32_e32 v106, 0xbf167918, v44
	;; [unrolled: 1-line block ×4, first 2 shown]
	v_add_f32_e32 v1, v87, v102
	v_add_f32_e32 v2, v102, v42
	;; [unrolled: 1-line block ×3, first 2 shown]
	v_fmac_f32_e32 v87, -0.5, v2
	v_add_f32_e32 v1, v1, v41
	v_sub_f32_e32 v102, v104, v102
	v_sub_f32_e32 v41, v41, v42
	v_add_f32_e32 v41, v102, v41
	v_mov_b32_e32 v102, v87
	v_fmac_f32_e32 v87, 0x3f737871, v44
	v_fmac_f32_e32 v102, 0xbf737871, v44
	;; [unrolled: 1-line block ×6, first 2 shown]
	v_mul_f32_e32 v41, 0xbe9e377a, v87
	v_mul_f32_e32 v44, 0xbf737871, v87
	v_fmac_f32_e32 v41, 0x3f737871, v86
	v_mul_f32_e32 v104, 0xbf167918, v103
	v_fmac_f32_e32 v44, 0xbe9e377a, v86
	v_mul_f32_e32 v86, 0xbf737871, v102
	v_mul_f32_e32 v87, 0x3f4f1bbd, v103
	;; [unrolled: 1-line block ×5, first 2 shown]
	v_add_f32_e32 v105, v1, v42
	v_fmac_f32_e32 v104, 0x3f4f1bbd, v100
	v_fmac_f32_e32 v86, 0x3e9e377a, v109
	v_fmac_f32_e32 v87, 0x3f167918, v100
	v_fmac_f32_e32 v103, 0xbf4f1bbd, v3
	v_fmac_f32_e32 v124, 0x3f737871, v109
	v_fmac_f32_e32 v125, 0x3f167918, v3
	v_add_f32_e32 v42, v4, v41
	v_sub_f32_e32 v4, v4, v41
	v_add_f32_e32 v43, v121, v111
	v_add_f32_e32 v110, v118, v104
	v_add_f32_e32 v41, v101, v44
	v_sub_f32_e32 v3, v101, v44
	v_add_f32_e32 v108, v119, v86
	v_add_f32_e32 v44, v107, v105
	v_sub_f32_e32 v100, v121, v111
	v_sub_f32_e32 v101, v107, v105
	v_add_f32_e32 v106, v117, v103
	v_add_f32_e32 v111, v120, v87
	;; [unrolled: 1-line block ×4, first 2 shown]
	v_sub_f32_e32 v102, v118, v104
	v_sub_f32_e32 v104, v119, v86
	;; [unrolled: 1-line block ×6, first 2 shown]
	s_barrier
	ds_write2st64_b64 v115, v[90:91], v[112:113] offset1:1
	ds_write2st64_b64 v115, v[13:14], v[29:30] offset0:2 offset1:3
	ds_write2st64_b64 v115, v[39:40], v[15:16] offset0:4 offset1:5
	;; [unrolled: 1-line block ×4, first 2 shown]
	ds_write2st64_b64 v116, v[43:44], v[110:111] offset1:1
	ds_write2st64_b64 v116, v[108:109], v[41:42] offset0:2 offset1:3
	ds_write2st64_b64 v116, v[106:107], v[100:101] offset0:4 offset1:5
	;; [unrolled: 1-line block ×4, first 2 shown]
	s_waitcnt lgkmcnt(0)
	s_barrier
	ds_read2st64_b64 v[13:16], v114 offset1:2
	ds_read2st64_b64 v[29:32], v114 offset0:8 offset1:10
	ds_read2st64_b64 v[33:36], v114 offset0:20 offset1:22
	;; [unrolled: 1-line block ×9, first 2 shown]
	s_waitcnt lgkmcnt(8)
	v_mul_f32_e32 v3, v6, v32
	v_mul_f32_e32 v4, v6, v31
	v_fmac_f32_e32 v3, v5, v31
	v_fma_f32 v4, v5, v32, -v4
	s_waitcnt lgkmcnt(7)
	v_mul_f32_e32 v5, v8, v34
	s_waitcnt lgkmcnt(5)
	v_mul_f32_e32 v31, v10, v42
	v_mul_f32_e32 v10, v10, v41
	v_fmac_f32_e32 v5, v7, v33
	v_mul_f32_e32 v6, v8, v33
	v_fmac_f32_e32 v31, v9, v41
	v_fma_f32 v32, v9, v42, -v10
	v_mul_f32_e32 v33, v12, v36
	v_mul_f32_e32 v9, v12, v35
	v_fmac_f32_e32 v33, v11, v35
	v_fma_f32 v11, v11, v36, -v9
	s_waitcnt lgkmcnt(4)
	v_mul_f32_e32 v9, v93, v100
	v_fma_f32 v6, v7, v34, -v6
	v_mul_f32_e32 v7, v99, v40
	v_fma_f32 v34, v92, v101, -v9
	v_mul_f32_e32 v9, v18, v43
	v_fmac_f32_e32 v7, v98, v39
	v_mul_f32_e32 v8, v99, v39
	v_fma_f32 v36, v17, v44, -v9
	s_waitcnt lgkmcnt(2)
	v_mul_f32_e32 v39, v20, v109
	v_mul_f32_e32 v9, v20, v108
	v_fmac_f32_e32 v39, v19, v108
	v_fma_f32 v19, v19, v109, -v9
	v_mul_f32_e32 v9, v89, v102
	v_fma_f32 v8, v98, v40, -v8
	v_fma_f32 v40, v88, v103, -v9
	s_waitcnt lgkmcnt(1)
	v_mul_f32_e32 v9, v22, v115
	v_fma_f32 v42, v21, v116, -v9
	v_mul_f32_e32 v9, v24, v110
	v_mul_f32_e32 v35, v18, v44
	v_fma_f32 v44, v23, v111, -v9
	s_waitcnt lgkmcnt(0)
	v_mul_f32_e32 v9, v97, v119
	v_fma_f32 v87, v96, v120, -v9
	v_mul_f32_e32 v9, v26, v117
	v_mul_f32_e32 v20, v89, v103
	v_fma_f32 v89, v25, v118, -v9
	v_mul_f32_e32 v90, v28, v38
	v_mul_f32_e32 v9, v28, v37
	v_fmac_f32_e32 v90, v27, v37
	v_fma_f32 v37, v27, v38, -v9
	v_mul_f32_e32 v9, v95, v121
	v_mul_f32_e32 v12, v93, v101
	v_fmac_f32_e32 v35, v17, v43
	v_fmac_f32_e32 v20, v88, v102
	v_mul_f32_e32 v41, v22, v116
	v_mul_f32_e32 v43, v24, v111
	;; [unrolled: 1-line block ×3, first 2 shown]
	v_fma_f32 v91, v94, v122, -v9
	v_sub_f32_e32 v9, v13, v5
	v_fmac_f32_e32 v12, v92, v100
	v_fmac_f32_e32 v41, v21, v115
	;; [unrolled: 1-line block ×4, first 2 shown]
	v_mul_f32_e32 v88, v26, v118
	v_mul_f32_e32 v38, v95, v122
	v_sub_f32_e32 v10, v14, v6
	v_fma_f32 v5, v13, 2.0, -v9
	v_sub_f32_e32 v13, v3, v7
	v_sub_f32_e32 v17, v15, v33
	;; [unrolled: 1-line block ×5, first 2 shown]
	v_fmac_f32_e32 v88, v25, v117
	v_fmac_f32_e32 v38, v94, v121
	v_fma_f32 v6, v14, 2.0, -v10
	v_sub_f32_e32 v7, v4, v8
	v_fma_f32 v3, v3, 2.0, -v13
	v_sub_f32_e32 v8, v10, v13
	v_fma_f32 v13, v15, 2.0, -v17
	v_fma_f32 v14, v16, 2.0, -v18
	v_sub_f32_e32 v16, v31, v12
	v_sub_f32_e32 v15, v32, v34
	;; [unrolled: 1-line block ×4, first 2 shown]
	v_fma_f32 v19, v35, 2.0, -v24
	v_sub_f32_e32 v35, v106, v43
	v_sub_f32_e32 v34, v41, v86
	v_fma_f32 v28, v42, 2.0, -v33
	v_sub_f32_e32 v42, v30, v37
	v_sub_f32_e32 v43, v89, v91
	v_fma_f32 v4, v4, 2.0, -v7
	v_fma_f32 v11, v31, 2.0, -v16
	;; [unrolled: 1-line block ×3, first 2 shown]
	v_sub_f32_e32 v25, v104, v39
	v_fma_f32 v20, v36, 2.0, -v23
	v_sub_f32_e32 v36, v107, v44
	v_fma_f32 v27, v41, 2.0, -v34
	;; [unrolled: 2-line block ×4, first 2 shown]
	v_sub_f32_e32 v3, v5, v3
	v_sub_f32_e32 v4, v6, v4
	;; [unrolled: 1-line block ×4, first 2 shown]
	v_fma_f32 v21, v104, 2.0, -v25
	v_fma_f32 v22, v105, 2.0, -v26
	;; [unrolled: 1-line block ×6, first 2 shown]
	v_sub_f32_e32 v30, v39, v30
	v_fma_f32 v5, v5, 2.0, -v3
	v_fma_f32 v6, v6, 2.0, -v4
	v_add_f32_e32 v7, v9, v7
	v_fma_f32 v13, v13, 2.0, -v11
	v_fma_f32 v14, v14, 2.0, -v12
	v_add_f32_e32 v15, v17, v15
	v_sub_f32_e32 v16, v18, v16
	v_sub_f32_e32 v19, v21, v19
	;; [unrolled: 1-line block ×3, first 2 shown]
	v_add_f32_e32 v23, v25, v23
	v_sub_f32_e32 v24, v26, v24
	v_sub_f32_e32 v27, v31, v27
	;; [unrolled: 1-line block ×3, first 2 shown]
	v_add_f32_e32 v33, v35, v33
	v_sub_f32_e32 v34, v36, v34
	v_sub_f32_e32 v29, v37, v29
	v_fma_f32 v38, v39, 2.0, -v30
	v_add_f32_e32 v39, v41, v43
	v_sub_f32_e32 v40, v42, v40
	v_fma_f32 v9, v9, 2.0, -v7
	v_fma_f32 v10, v10, 2.0, -v8
	;; [unrolled: 1-line block ×15, first 2 shown]
	ds_write2st64_b64 v114, v[5:6], v[13:14] offset1:2
	ds_write2st64_b64 v114, v[3:4], v[11:12] offset0:20 offset1:22
	ds_write2st64_b64 v114, v[17:18], v[25:26] offset0:12 offset1:14
	;; [unrolled: 1-line block ×9, first 2 shown]
	s_waitcnt lgkmcnt(0)
	s_barrier
	ds_read2st64_b64 v[3:6], v114 offset1:2
	v_mad_u64_u32 v[1:2], s[6:7], s2, v73, 0
	v_mad_u64_u32 v[11:12], s[6:7], s0, v0, 0
	s_waitcnt lgkmcnt(0)
	v_mad_u64_u32 v[7:8], s[2:3], s3, v73, v[2:3]
	v_mul_f32_e32 v2, v79, v4
	v_fmac_f32_e32 v2, v78, v3
	v_cvt_f64_f32_e32 v[8:9], v2
	s_mov_b32 s2, 0x9999999a
	s_mov_b32 s3, 0x3f399999
	v_mul_f32_e32 v2, v79, v3
	v_mul_f64 v[8:9], v[8:9], s[2:3]
	v_fma_f32 v2, v78, v4, -v2
	v_cvt_f64_f32_e32 v[2:3], v2
	v_mul_f64 v[3:4], v[2:3], s[2:3]
	v_mov_b32_e32 v2, v7
	v_mov_b32_e32 v7, v12
	v_mad_u64_u32 v[12:13], s[6:7], s1, v0, v[7:8]
	v_cvt_f32_f64_e32 v13, v[8:9]
	ds_read2st64_b64 v[7:10], v114 offset0:8 offset1:10
	v_lshlrev_b64 v[0:1], 3, v[1:2]
	v_cvt_f32_f64_e32 v14, v[3:4]
	v_mov_b32_e32 v4, s5
	v_add_co_u32_e32 v15, vcc, s4, v0
	s_waitcnt lgkmcnt(0)
	v_mul_f32_e32 v2, v72, v10
	v_fmac_f32_e32 v2, v71, v9
	v_cvt_f64_f32_e32 v[2:3], v2
	v_addc_co_u32_e32 v4, vcc, v4, v1, vcc
	v_mul_f32_e32 v9, v72, v9
	v_mul_f64 v[0:1], v[2:3], s[2:3]
	v_lshlrev_b64 v[2:3], 3, v[11:12]
	v_fma_f32 v9, v71, v10, -v9
	v_add_co_u32_e32 v11, vcc, v15, v2
	v_cvt_f64_f32_e32 v[9:10], v9
	v_addc_co_u32_e32 v12, vcc, v4, v3, vcc
	global_store_dwordx2 v[11:12], v[13:14], off
	v_cvt_f32_f64_e32 v13, v[0:1]
	ds_read2st64_b64 v[0:3], v114 offset0:20 offset1:22
	v_mul_f64 v[9:10], v[9:10], s[2:3]
	s_mul_i32 s4, s1, 0x1400
	s_mul_hi_u32 s5, s0, 0x1400
	s_add_i32 s4, s5, s4
	s_waitcnt lgkmcnt(0)
	v_mul_f32_e32 v4, v85, v1
	v_fmac_f32_e32 v4, v84, v0
	v_mul_f32_e32 v0, v85, v0
	v_fma_f32 v0, v84, v1, -v0
	v_cvt_f64_f32_e32 v[0:1], v0
	v_cvt_f32_f64_e32 v14, v[9:10]
	v_cvt_f64_f32_e32 v[9:10], v4
	s_mul_i32 s5, s0, 0x1400
	v_mul_f64 v[0:1], v[0:1], s[2:3]
	v_mov_b32_e32 v4, s4
	v_add_co_u32_e32 v17, vcc, s5, v11
	v_mul_f64 v[15:16], v[9:10], s[2:3]
	v_addc_co_u32_e32 v18, vcc, v12, v4, vcc
	ds_read2st64_b64 v[9:12], v114 offset0:28 offset1:30
	global_store_dwordx2 v[17:18], v[13:14], off
	v_cvt_f32_f64_e32 v14, v[0:1]
	s_mul_hi_u32 s6, s0, 0xffffc800
	s_mulk_i32 s1, 0xc800
	s_waitcnt lgkmcnt(0)
	v_mul_f32_e32 v0, v81, v12
	v_fmac_f32_e32 v0, v80, v11
	v_mul_f32_e32 v11, v81, v11
	v_fma_f32 v11, v80, v12, -v11
	v_cvt_f64_f32_e32 v[0:1], v0
	v_cvt_f64_f32_e32 v[11:12], v11
	v_cvt_f32_f64_e32 v13, v[15:16]
	v_add_co_u32_e32 v15, vcc, s5, v17
	v_mul_f64 v[0:1], v[0:1], s[2:3]
	v_mul_f64 v[11:12], v[11:12], s[2:3]
	v_addc_co_u32_e32 v16, vcc, v18, v4, vcc
	v_mul_f32_e32 v4, v75, v6
	v_fmac_f32_e32 v4, v74, v5
	global_store_dwordx2 v[15:16], v[13:14], off
	v_cvt_f64_f32_e32 v[13:14], v4
	v_mul_f32_e32 v4, v75, v5
	v_fma_f32 v4, v74, v6, -v4
	v_cvt_f32_f64_e32 v0, v[0:1]
	v_cvt_f32_f64_e32 v1, v[11:12]
	v_mul_f64 v[11:12], v[13:14], s[2:3]
	v_cvt_f64_f32_e32 v[4:5], v4
	v_mov_b32_e32 v6, s4
	v_add_co_u32_e32 v15, vcc, s5, v15
	v_mul_f64 v[4:5], v[4:5], s[2:3]
	v_addc_co_u32_e32 v16, vcc, v16, v6, vcc
	global_store_dwordx2 v[15:16], v[0:1], off
	v_cvt_f32_f64_e32 v0, v[11:12]
	ds_read2st64_b64 v[11:14], v114 offset0:12 offset1:14
	s_sub_i32 s6, s6, s0
	s_add_i32 s1, s6, s1
	v_cvt_f32_f64_e32 v1, v[4:5]
	s_mulk_i32 s0, 0xc800
	s_waitcnt lgkmcnt(0)
	v_mul_f32_e32 v4, v68, v12
	v_mul_f32_e32 v6, v68, v11
	v_fmac_f32_e32 v4, v67, v11
	v_fma_f32 v6, v67, v12, -v6
	v_cvt_f64_f32_e32 v[4:5], v4
	v_cvt_f64_f32_e32 v[11:12], v6
	v_mov_b32_e32 v6, s1
	v_add_co_u32_e32 v15, vcc, s0, v15
	v_mul_f64 v[4:5], v[4:5], s[2:3]
	v_mul_f64 v[11:12], v[11:12], s[2:3]
	v_addc_co_u32_e32 v16, vcc, v16, v6, vcc
	global_store_dwordx2 v[15:16], v[0:1], off
	v_mul_f32_e32 v0, v60, v3
	v_fmac_f32_e32 v0, v59, v2
	v_cvt_f64_f32_e32 v[0:1], v0
	v_cvt_f32_f64_e32 v4, v[4:5]
	v_cvt_f32_f64_e32 v5, v[11:12]
	v_mov_b32_e32 v6, s4
	v_mul_f64 v[11:12], v[0:1], s[2:3]
	v_mul_f32_e32 v0, v60, v2
	v_fma_f32 v0, v59, v3, -v0
	v_cvt_f64_f32_e32 v[17:18], v0
	ds_read2st64_b64 v[0:3], v114 offset0:32 offset1:34
	v_add_co_u32_e32 v19, vcc, s5, v15
	v_addc_co_u32_e32 v20, vcc, v16, v6, vcc
	global_store_dwordx2 v[19:20], v[4:5], off
	v_mul_f64 v[4:5], v[17:18], s[2:3]
	s_waitcnt lgkmcnt(0)
	v_mul_f32_e32 v6, v52, v1
	v_fmac_f32_e32 v6, v51, v0
	v_cvt_f64_f32_e32 v[15:16], v6
	v_mul_f32_e32 v0, v52, v0
	v_fma_f32 v0, v51, v1, -v0
	v_cvt_f64_f32_e32 v[0:1], v0
	v_cvt_f32_f64_e32 v11, v[11:12]
	v_cvt_f32_f64_e32 v12, v[4:5]
	v_mul_f64 v[4:5], v[15:16], s[2:3]
	ds_read2st64_b64 v[15:18], v114 offset0:4 offset1:6
	v_mul_f64 v[0:1], v[0:1], s[2:3]
	v_mov_b32_e32 v6, s4
	v_add_co_u32_e32 v19, vcc, s5, v19
	v_addc_co_u32_e32 v20, vcc, v20, v6, vcc
	s_waitcnt lgkmcnt(0)
	v_mul_f32_e32 v6, v48, v16
	v_fmac_f32_e32 v6, v47, v15
	global_store_dwordx2 v[19:20], v[11:12], off
	v_cvt_f64_f32_e32 v[11:12], v6
	v_cvt_f32_f64_e32 v4, v[4:5]
	v_cvt_f32_f64_e32 v5, v[0:1]
	v_mov_b32_e32 v6, s4
	v_mul_f64 v[0:1], v[11:12], s[2:3]
	v_mul_f32_e32 v11, v48, v15
	v_fma_f32 v11, v47, v16, -v11
	v_cvt_f64_f32_e32 v[11:12], v11
	v_add_co_u32_e32 v15, vcc, s5, v19
	v_addc_co_u32_e32 v16, vcc, v20, v6, vcc
	global_store_dwordx2 v[15:16], v[4:5], off
	v_mul_f64 v[4:5], v[11:12], s[2:3]
	v_cvt_f32_f64_e32 v0, v[0:1]
	v_mul_f32_e32 v1, v83, v14
	v_fmac_f32_e32 v1, v82, v13
	v_cvt_f64_f32_e32 v[11:12], v1
	v_mul_f32_e32 v1, v83, v13
	v_fma_f32 v1, v82, v14, -v1
	v_cvt_f64_f32_e32 v[13:14], v1
	v_cvt_f32_f64_e32 v1, v[4:5]
	v_mul_f64 v[4:5], v[11:12], s[2:3]
	v_mov_b32_e32 v6, s1
	v_mul_f64 v[19:20], v[13:14], s[2:3]
	ds_read2st64_b64 v[11:14], v114 offset0:24 offset1:26
	v_add_co_u32_e32 v15, vcc, s0, v15
	v_addc_co_u32_e32 v16, vcc, v16, v6, vcc
	global_store_dwordx2 v[15:16], v[0:1], off
	v_cvt_f32_f64_e32 v0, v[4:5]
	s_waitcnt lgkmcnt(0)
	v_mul_f32_e32 v4, v77, v12
	v_fmac_f32_e32 v4, v76, v11
	v_mul_f32_e32 v11, v77, v11
	v_fma_f32 v11, v76, v12, -v11
	v_cvt_f32_f64_e32 v1, v[19:20]
	v_cvt_f64_f32_e32 v[4:5], v4
	v_cvt_f64_f32_e32 v[11:12], v11
	v_mov_b32_e32 v6, s4
	v_add_co_u32_e32 v15, vcc, s5, v15
	v_addc_co_u32_e32 v16, vcc, v16, v6, vcc
	global_store_dwordx2 v[15:16], v[0:1], off
	v_mul_f64 v[0:1], v[4:5], s[2:3]
	v_mul_f64 v[4:5], v[11:12], s[2:3]
	v_mul_f32_e32 v6, v70, v3
	v_fmac_f32_e32 v6, v69, v2
	v_mul_f32_e32 v2, v70, v2
	v_fma_f32 v2, v69, v3, -v2
	v_cvt_f64_f32_e32 v[11:12], v6
	v_cvt_f64_f32_e32 v[2:3], v2
	v_cvt_f32_f64_e32 v0, v[0:1]
	v_cvt_f32_f64_e32 v1, v[4:5]
	v_mul_f64 v[4:5], v[11:12], s[2:3]
	v_mul_f64 v[2:3], v[2:3], s[2:3]
	v_mov_b32_e32 v6, s4
	v_add_co_u32_e32 v11, vcc, s5, v15
	v_addc_co_u32_e32 v12, vcc, v16, v6, vcc
	global_store_dwordx2 v[11:12], v[0:1], off
	v_mul_f32_e32 v0, v46, v18
	v_fmac_f32_e32 v0, v45, v17
	v_cvt_f64_f32_e32 v[15:16], v0
	v_mul_f32_e32 v0, v46, v17
	v_fma_f32 v0, v45, v18, -v0
	v_cvt_f32_f64_e32 v4, v[4:5]
	v_cvt_f32_f64_e32 v5, v[2:3]
	v_cvt_f64_f32_e32 v[17:18], v0
	ds_read2st64_b64 v[0:3], v114 offset0:16 offset1:18
	v_add_co_u32_e32 v11, vcc, s5, v11
	v_addc_co_u32_e32 v12, vcc, v12, v6, vcc
	s_waitcnt lgkmcnt(0)
	v_mul_f32_e32 v6, v66, v1
	global_store_dwordx2 v[11:12], v[4:5], off
	v_mul_f64 v[4:5], v[15:16], s[2:3]
	v_mul_f64 v[15:16], v[17:18], s[2:3]
	v_fmac_f32_e32 v6, v65, v0
	v_mul_f32_e32 v0, v66, v0
	v_fma_f32 v0, v65, v1, -v0
	v_cvt_f64_f32_e32 v[0:1], v0
	v_cvt_f64_f32_e32 v[17:18], v6
	v_mov_b32_e32 v6, s1
	v_cvt_f32_f64_e32 v4, v[4:5]
	v_mul_f64 v[0:1], v[0:1], s[2:3]
	v_cvt_f32_f64_e32 v5, v[15:16]
	v_mul_f64 v[15:16], v[17:18], s[2:3]
	v_add_co_u32_e32 v17, vcc, s0, v11
	v_addc_co_u32_e32 v18, vcc, v12, v6, vcc
	global_store_dwordx2 v[17:18], v[4:5], off
	v_cvt_f32_f64_e32 v5, v[0:1]
	v_mul_f32_e32 v0, v64, v14
	v_mul_f32_e32 v11, v64, v13
	v_fmac_f32_e32 v0, v63, v13
	v_fma_f32 v11, v63, v14, -v11
	v_cvt_f32_f64_e32 v4, v[15:16]
	v_cvt_f64_f32_e32 v[0:1], v0
	v_cvt_f64_f32_e32 v[15:16], v11
	ds_read2st64_b64 v[11:14], v114 offset0:36 offset1:38
	v_mov_b32_e32 v6, s4
	v_add_co_u32_e32 v17, vcc, s5, v17
	v_addc_co_u32_e32 v18, vcc, v18, v6, vcc
	global_store_dwordx2 v[17:18], v[4:5], off
	v_mul_f64 v[0:1], v[0:1], s[2:3]
	v_mul_f64 v[4:5], v[15:16], s[2:3]
	s_waitcnt lgkmcnt(0)
	v_mul_f32_e32 v6, v62, v12
	v_fmac_f32_e32 v6, v61, v11
	v_cvt_f64_f32_e32 v[15:16], v6
	v_mul_f32_e32 v6, v62, v11
	v_fma_f32 v6, v61, v12, -v6
	v_cvt_f64_f32_e32 v[11:12], v6
	v_cvt_f32_f64_e32 v0, v[0:1]
	v_cvt_f32_f64_e32 v1, v[4:5]
	v_mul_f64 v[4:5], v[15:16], s[2:3]
	v_mul_f64 v[11:12], v[11:12], s[2:3]
	v_mov_b32_e32 v6, s4
	v_add_co_u32_e32 v15, vcc, s5, v17
	v_addc_co_u32_e32 v16, vcc, v18, v6, vcc
	global_store_dwordx2 v[15:16], v[0:1], off
	v_cvt_f32_f64_e32 v0, v[4:5]
	v_mul_f32_e32 v4, v58, v8
	v_mul_f32_e32 v6, v58, v7
	v_fmac_f32_e32 v4, v57, v7
	v_fma_f32 v6, v57, v8, -v6
	v_cvt_f32_f64_e32 v1, v[11:12]
	v_cvt_f64_f32_e32 v[4:5], v4
	v_cvt_f64_f32_e32 v[6:7], v6
	v_mov_b32_e32 v12, s4
	v_add_co_u32_e32 v11, vcc, s5, v15
	v_addc_co_u32_e32 v12, vcc, v16, v12, vcc
	global_store_dwordx2 v[11:12], v[0:1], off
	v_mul_f64 v[0:1], v[4:5], s[2:3]
	v_mul_f64 v[4:5], v[6:7], s[2:3]
	v_mul_f32_e32 v6, v56, v3
	v_fmac_f32_e32 v6, v55, v2
	v_mul_f32_e32 v2, v56, v2
	v_fma_f32 v2, v55, v3, -v2
	v_cvt_f64_f32_e32 v[6:7], v6
	v_cvt_f64_f32_e32 v[2:3], v2
	v_cvt_f32_f64_e32 v0, v[0:1]
	v_cvt_f32_f64_e32 v1, v[4:5]
	v_mul_f64 v[4:5], v[6:7], s[2:3]
	v_mul_f64 v[2:3], v[2:3], s[2:3]
	v_mov_b32_e32 v7, s1
	v_add_co_u32_e32 v6, vcc, s0, v11
	v_addc_co_u32_e32 v7, vcc, v12, v7, vcc
	global_store_dwordx2 v[6:7], v[0:1], off
	v_cvt_f32_f64_e32 v0, v[4:5]
	v_cvt_f32_f64_e32 v1, v[2:3]
	v_mul_f32_e32 v2, v54, v10
	v_mul_f32_e32 v4, v54, v9
	v_fmac_f32_e32 v2, v53, v9
	v_fma_f32 v4, v53, v10, -v4
	v_cvt_f64_f32_e32 v[2:3], v2
	v_cvt_f64_f32_e32 v[4:5], v4
	v_mov_b32_e32 v8, s4
	v_add_co_u32_e32 v6, vcc, s5, v6
	v_addc_co_u32_e32 v7, vcc, v7, v8, vcc
	global_store_dwordx2 v[6:7], v[0:1], off
	v_mul_f64 v[0:1], v[2:3], s[2:3]
	v_mul_f64 v[2:3], v[4:5], s[2:3]
	v_mul_f32_e32 v4, v50, v14
	v_mul_f32_e32 v8, v50, v13
	v_fmac_f32_e32 v4, v49, v13
	v_fma_f32 v8, v49, v14, -v8
	v_cvt_f64_f32_e32 v[4:5], v4
	v_cvt_f64_f32_e32 v[8:9], v8
	v_cvt_f32_f64_e32 v0, v[0:1]
	v_cvt_f32_f64_e32 v1, v[2:3]
	v_mul_f64 v[2:3], v[4:5], s[2:3]
	v_mul_f64 v[4:5], v[8:9], s[2:3]
	v_mov_b32_e32 v8, s4
	v_add_co_u32_e32 v6, vcc, s5, v6
	v_addc_co_u32_e32 v7, vcc, v7, v8, vcc
	global_store_dwordx2 v[6:7], v[0:1], off
	v_cvt_f32_f64_e32 v0, v[2:3]
	v_cvt_f32_f64_e32 v1, v[4:5]
	v_mov_b32_e32 v3, s4
	v_add_co_u32_e32 v2, vcc, s5, v6
	v_addc_co_u32_e32 v3, vcc, v7, v3, vcc
	global_store_dwordx2 v[2:3], v[0:1], off
.LBB0_2:
	s_endpgm
	.section	.rodata,"a",@progbits
	.p2align	6, 0x0
	.amdhsa_kernel bluestein_single_fwd_len2560_dim1_sp_op_CI_CI
		.amdhsa_group_segment_fixed_size 20480
		.amdhsa_private_segment_fixed_size 0
		.amdhsa_kernarg_size 104
		.amdhsa_user_sgpr_count 6
		.amdhsa_user_sgpr_private_segment_buffer 1
		.amdhsa_user_sgpr_dispatch_ptr 0
		.amdhsa_user_sgpr_queue_ptr 0
		.amdhsa_user_sgpr_kernarg_segment_ptr 1
		.amdhsa_user_sgpr_dispatch_id 0
		.amdhsa_user_sgpr_flat_scratch_init 0
		.amdhsa_user_sgpr_private_segment_size 0
		.amdhsa_uses_dynamic_stack 0
		.amdhsa_system_sgpr_private_segment_wavefront_offset 0
		.amdhsa_system_sgpr_workgroup_id_x 1
		.amdhsa_system_sgpr_workgroup_id_y 0
		.amdhsa_system_sgpr_workgroup_id_z 0
		.amdhsa_system_sgpr_workgroup_info 0
		.amdhsa_system_vgpr_workitem_id 0
		.amdhsa_next_free_vgpr 176
		.amdhsa_next_free_sgpr 20
		.amdhsa_reserve_vcc 1
		.amdhsa_reserve_flat_scratch 0
		.amdhsa_float_round_mode_32 0
		.amdhsa_float_round_mode_16_64 0
		.amdhsa_float_denorm_mode_32 3
		.amdhsa_float_denorm_mode_16_64 3
		.amdhsa_dx10_clamp 1
		.amdhsa_ieee_mode 1
		.amdhsa_fp16_overflow 0
		.amdhsa_exception_fp_ieee_invalid_op 0
		.amdhsa_exception_fp_denorm_src 0
		.amdhsa_exception_fp_ieee_div_zero 0
		.amdhsa_exception_fp_ieee_overflow 0
		.amdhsa_exception_fp_ieee_underflow 0
		.amdhsa_exception_fp_ieee_inexact 0
		.amdhsa_exception_int_div_zero 0
	.end_amdhsa_kernel
	.text
.Lfunc_end0:
	.size	bluestein_single_fwd_len2560_dim1_sp_op_CI_CI, .Lfunc_end0-bluestein_single_fwd_len2560_dim1_sp_op_CI_CI
                                        ; -- End function
	.section	.AMDGPU.csdata,"",@progbits
; Kernel info:
; codeLenInByte = 16544
; NumSgprs: 24
; NumVgprs: 176
; ScratchSize: 0
; MemoryBound: 0
; FloatMode: 240
; IeeeMode: 1
; LDSByteSize: 20480 bytes/workgroup (compile time only)
; SGPRBlocks: 2
; VGPRBlocks: 43
; NumSGPRsForWavesPerEU: 24
; NumVGPRsForWavesPerEU: 176
; Occupancy: 1
; WaveLimiterHint : 1
; COMPUTE_PGM_RSRC2:SCRATCH_EN: 0
; COMPUTE_PGM_RSRC2:USER_SGPR: 6
; COMPUTE_PGM_RSRC2:TRAP_HANDLER: 0
; COMPUTE_PGM_RSRC2:TGID_X_EN: 1
; COMPUTE_PGM_RSRC2:TGID_Y_EN: 0
; COMPUTE_PGM_RSRC2:TGID_Z_EN: 0
; COMPUTE_PGM_RSRC2:TIDIG_COMP_CNT: 0
	.type	__hip_cuid_975c3ce4199e46bb,@object ; @__hip_cuid_975c3ce4199e46bb
	.section	.bss,"aw",@nobits
	.globl	__hip_cuid_975c3ce4199e46bb
__hip_cuid_975c3ce4199e46bb:
	.byte	0                               ; 0x0
	.size	__hip_cuid_975c3ce4199e46bb, 1

	.ident	"AMD clang version 19.0.0git (https://github.com/RadeonOpenCompute/llvm-project roc-6.4.0 25133 c7fe45cf4b819c5991fe208aaa96edf142730f1d)"
	.section	".note.GNU-stack","",@progbits
	.addrsig
	.addrsig_sym __hip_cuid_975c3ce4199e46bb
	.amdgpu_metadata
---
amdhsa.kernels:
  - .args:
      - .actual_access:  read_only
        .address_space:  global
        .offset:         0
        .size:           8
        .value_kind:     global_buffer
      - .actual_access:  read_only
        .address_space:  global
        .offset:         8
        .size:           8
        .value_kind:     global_buffer
      - .actual_access:  read_only
        .address_space:  global
        .offset:         16
        .size:           8
        .value_kind:     global_buffer
      - .actual_access:  read_only
        .address_space:  global
        .offset:         24
        .size:           8
        .value_kind:     global_buffer
      - .actual_access:  read_only
        .address_space:  global
        .offset:         32
        .size:           8
        .value_kind:     global_buffer
      - .offset:         40
        .size:           8
        .value_kind:     by_value
      - .address_space:  global
        .offset:         48
        .size:           8
        .value_kind:     global_buffer
      - .address_space:  global
        .offset:         56
        .size:           8
        .value_kind:     global_buffer
      - .address_space:  global
        .offset:         64
        .size:           8
        .value_kind:     global_buffer
      - .address_space:  global
        .offset:         72
        .size:           8
        .value_kind:     global_buffer
      - .offset:         80
        .size:           4
        .value_kind:     by_value
      - .address_space:  global
        .offset:         88
        .size:           8
        .value_kind:     global_buffer
      - .address_space:  global
        .offset:         96
        .size:           8
        .value_kind:     global_buffer
    .group_segment_fixed_size: 20480
    .kernarg_segment_align: 8
    .kernarg_segment_size: 104
    .language:       OpenCL C
    .language_version:
      - 2
      - 0
    .max_flat_workgroup_size: 128
    .name:           bluestein_single_fwd_len2560_dim1_sp_op_CI_CI
    .private_segment_fixed_size: 0
    .sgpr_count:     24
    .sgpr_spill_count: 0
    .symbol:         bluestein_single_fwd_len2560_dim1_sp_op_CI_CI.kd
    .uniform_work_group_size: 1
    .uses_dynamic_stack: false
    .vgpr_count:     176
    .vgpr_spill_count: 0
    .wavefront_size: 64
amdhsa.target:   amdgcn-amd-amdhsa--gfx906
amdhsa.version:
  - 1
  - 2
...

	.end_amdgpu_metadata
